;; amdgpu-corpus repo=ROCm/rocFFT kind=compiled arch=gfx906 opt=O3
	.text
	.amdgcn_target "amdgcn-amd-amdhsa--gfx906"
	.amdhsa_code_object_version 6
	.protected	fft_rtc_back_len2700_factors_3_10_10_3_3_wgs_90_tpt_90_halfLds_sp_op_CI_CI_unitstride_sbrr_C2R_dirReg ; -- Begin function fft_rtc_back_len2700_factors_3_10_10_3_3_wgs_90_tpt_90_halfLds_sp_op_CI_CI_unitstride_sbrr_C2R_dirReg
	.globl	fft_rtc_back_len2700_factors_3_10_10_3_3_wgs_90_tpt_90_halfLds_sp_op_CI_CI_unitstride_sbrr_C2R_dirReg
	.p2align	8
	.type	fft_rtc_back_len2700_factors_3_10_10_3_3_wgs_90_tpt_90_halfLds_sp_op_CI_CI_unitstride_sbrr_C2R_dirReg,@function
fft_rtc_back_len2700_factors_3_10_10_3_3_wgs_90_tpt_90_halfLds_sp_op_CI_CI_unitstride_sbrr_C2R_dirReg: ; @fft_rtc_back_len2700_factors_3_10_10_3_3_wgs_90_tpt_90_halfLds_sp_op_CI_CI_unitstride_sbrr_C2R_dirReg
; %bb.0:
	s_load_dwordx4 s[8:11], s[4:5], 0x58
	s_load_dwordx4 s[12:15], s[4:5], 0x0
	;; [unrolled: 1-line block ×3, first 2 shown]
	v_mul_u32_u24_e32 v1, 0x2d9, v0
	v_add_u32_sdwa v10, s6, v1 dst_sel:DWORD dst_unused:UNUSED_PAD src0_sel:DWORD src1_sel:WORD_1
	v_mov_b32_e32 v6, 0
	s_waitcnt lgkmcnt(0)
	v_cmp_lt_u64_e64 s[0:1], s[14:15], 2
	v_mov_b32_e32 v1, 0
	v_mov_b32_e32 v11, v6
	s_and_b64 vcc, exec, s[0:1]
	v_mov_b32_e32 v2, 0
	s_cbranch_vccnz .LBB0_8
; %bb.1:
	s_load_dwordx2 s[0:1], s[4:5], 0x10
	s_add_u32 s2, s18, 8
	s_addc_u32 s3, s19, 0
	s_add_u32 s6, s16, 8
	v_mov_b32_e32 v1, 0
	s_addc_u32 s7, s17, 0
	v_mov_b32_e32 v2, 0
	s_waitcnt lgkmcnt(0)
	s_add_u32 s20, s0, 8
	v_mov_b32_e32 v5, v2
	s_addc_u32 s21, s1, 0
	s_mov_b64 s[22:23], 1
	v_mov_b32_e32 v4, v1
.LBB0_2:                                ; =>This Inner Loop Header: Depth=1
	s_load_dwordx2 s[24:25], s[20:21], 0x0
                                        ; implicit-def: $vgpr8_vgpr9
	s_waitcnt lgkmcnt(0)
	v_or_b32_e32 v7, s25, v11
	v_cmp_ne_u64_e32 vcc, 0, v[6:7]
	s_and_saveexec_b64 s[0:1], vcc
	s_xor_b64 s[26:27], exec, s[0:1]
	s_cbranch_execz .LBB0_4
; %bb.3:                                ;   in Loop: Header=BB0_2 Depth=1
	v_cvt_f32_u32_e32 v3, s24
	v_cvt_f32_u32_e32 v7, s25
	s_sub_u32 s0, 0, s24
	s_subb_u32 s1, 0, s25
	v_mac_f32_e32 v3, 0x4f800000, v7
	v_rcp_f32_e32 v3, v3
	v_mul_f32_e32 v3, 0x5f7ffffc, v3
	v_mul_f32_e32 v7, 0x2f800000, v3
	v_trunc_f32_e32 v7, v7
	v_mac_f32_e32 v3, 0xcf800000, v7
	v_cvt_u32_f32_e32 v7, v7
	v_cvt_u32_f32_e32 v3, v3
	v_mul_lo_u32 v8, s0, v7
	v_mul_hi_u32 v9, s0, v3
	v_mul_lo_u32 v13, s1, v3
	v_mul_lo_u32 v12, s0, v3
	v_add_u32_e32 v8, v9, v8
	v_add_u32_e32 v8, v8, v13
	v_mul_hi_u32 v9, v3, v12
	v_mul_lo_u32 v13, v3, v8
	v_mul_hi_u32 v15, v3, v8
	v_mul_hi_u32 v14, v7, v12
	v_mul_lo_u32 v12, v7, v12
	v_mul_hi_u32 v16, v7, v8
	v_add_co_u32_e32 v9, vcc, v9, v13
	v_addc_co_u32_e32 v13, vcc, 0, v15, vcc
	v_mul_lo_u32 v8, v7, v8
	v_add_co_u32_e32 v9, vcc, v9, v12
	v_addc_co_u32_e32 v9, vcc, v13, v14, vcc
	v_addc_co_u32_e32 v12, vcc, 0, v16, vcc
	v_add_co_u32_e32 v8, vcc, v9, v8
	v_addc_co_u32_e32 v9, vcc, 0, v12, vcc
	v_add_co_u32_e32 v3, vcc, v3, v8
	v_addc_co_u32_e32 v7, vcc, v7, v9, vcc
	v_mul_lo_u32 v8, s0, v7
	v_mul_hi_u32 v9, s0, v3
	v_mul_lo_u32 v12, s1, v3
	v_mul_lo_u32 v13, s0, v3
	v_add_u32_e32 v8, v9, v8
	v_add_u32_e32 v8, v8, v12
	v_mul_lo_u32 v14, v3, v8
	v_mul_hi_u32 v15, v3, v13
	v_mul_hi_u32 v16, v3, v8
	v_mul_hi_u32 v12, v7, v13
	v_mul_lo_u32 v13, v7, v13
	v_mul_hi_u32 v9, v7, v8
	v_add_co_u32_e32 v14, vcc, v15, v14
	v_addc_co_u32_e32 v15, vcc, 0, v16, vcc
	v_mul_lo_u32 v8, v7, v8
	v_add_co_u32_e32 v13, vcc, v14, v13
	v_addc_co_u32_e32 v12, vcc, v15, v12, vcc
	v_addc_co_u32_e32 v9, vcc, 0, v9, vcc
	v_add_co_u32_e32 v8, vcc, v12, v8
	v_addc_co_u32_e32 v9, vcc, 0, v9, vcc
	v_add_co_u32_e32 v3, vcc, v3, v8
	v_addc_co_u32_e32 v9, vcc, v7, v9, vcc
	v_mad_u64_u32 v[7:8], s[0:1], v10, v9, 0
	v_mul_hi_u32 v12, v10, v3
	v_add_co_u32_e32 v14, vcc, v12, v7
	v_addc_co_u32_e32 v15, vcc, 0, v8, vcc
	v_mad_u64_u32 v[7:8], s[0:1], v11, v3, 0
	v_mad_u64_u32 v[12:13], s[0:1], v11, v9, 0
	v_add_co_u32_e32 v3, vcc, v14, v7
	v_addc_co_u32_e32 v3, vcc, v15, v8, vcc
	v_addc_co_u32_e32 v7, vcc, 0, v13, vcc
	v_add_co_u32_e32 v3, vcc, v3, v12
	v_addc_co_u32_e32 v9, vcc, 0, v7, vcc
	v_mul_lo_u32 v12, s25, v3
	v_mul_lo_u32 v13, s24, v9
	v_mad_u64_u32 v[7:8], s[0:1], s24, v3, 0
	v_add3_u32 v8, v8, v13, v12
	v_sub_u32_e32 v12, v11, v8
	v_mov_b32_e32 v13, s25
	v_sub_co_u32_e32 v7, vcc, v10, v7
	v_subb_co_u32_e64 v12, s[0:1], v12, v13, vcc
	v_subrev_co_u32_e64 v13, s[0:1], s24, v7
	v_subbrev_co_u32_e64 v12, s[0:1], 0, v12, s[0:1]
	v_cmp_le_u32_e64 s[0:1], s25, v12
	v_cndmask_b32_e64 v14, 0, -1, s[0:1]
	v_cmp_le_u32_e64 s[0:1], s24, v13
	v_cndmask_b32_e64 v13, 0, -1, s[0:1]
	v_cmp_eq_u32_e64 s[0:1], s25, v12
	v_cndmask_b32_e64 v12, v14, v13, s[0:1]
	v_add_co_u32_e64 v13, s[0:1], 2, v3
	v_addc_co_u32_e64 v14, s[0:1], 0, v9, s[0:1]
	v_add_co_u32_e64 v15, s[0:1], 1, v3
	v_addc_co_u32_e64 v16, s[0:1], 0, v9, s[0:1]
	v_subb_co_u32_e32 v8, vcc, v11, v8, vcc
	v_cmp_ne_u32_e64 s[0:1], 0, v12
	v_cmp_le_u32_e32 vcc, s25, v8
	v_cndmask_b32_e64 v12, v16, v14, s[0:1]
	v_cndmask_b32_e64 v14, 0, -1, vcc
	v_cmp_le_u32_e32 vcc, s24, v7
	v_cndmask_b32_e64 v7, 0, -1, vcc
	v_cmp_eq_u32_e32 vcc, s25, v8
	v_cndmask_b32_e32 v7, v14, v7, vcc
	v_cmp_ne_u32_e32 vcc, 0, v7
	v_cndmask_b32_e64 v7, v15, v13, s[0:1]
	v_cndmask_b32_e32 v9, v9, v12, vcc
	v_cndmask_b32_e32 v8, v3, v7, vcc
.LBB0_4:                                ;   in Loop: Header=BB0_2 Depth=1
	s_andn2_saveexec_b64 s[0:1], s[26:27]
	s_cbranch_execz .LBB0_6
; %bb.5:                                ;   in Loop: Header=BB0_2 Depth=1
	v_cvt_f32_u32_e32 v3, s24
	s_sub_i32 s26, 0, s24
	v_rcp_iflag_f32_e32 v3, v3
	v_mul_f32_e32 v3, 0x4f7ffffe, v3
	v_cvt_u32_f32_e32 v3, v3
	v_mul_lo_u32 v7, s26, v3
	v_mul_hi_u32 v7, v3, v7
	v_add_u32_e32 v3, v3, v7
	v_mul_hi_u32 v3, v10, v3
	v_mul_lo_u32 v7, v3, s24
	v_add_u32_e32 v8, 1, v3
	v_sub_u32_e32 v7, v10, v7
	v_subrev_u32_e32 v9, s24, v7
	v_cmp_le_u32_e32 vcc, s24, v7
	v_cndmask_b32_e32 v7, v7, v9, vcc
	v_cndmask_b32_e32 v3, v3, v8, vcc
	v_add_u32_e32 v8, 1, v3
	v_cmp_le_u32_e32 vcc, s24, v7
	v_cndmask_b32_e32 v8, v3, v8, vcc
	v_mov_b32_e32 v9, v6
.LBB0_6:                                ;   in Loop: Header=BB0_2 Depth=1
	s_or_b64 exec, exec, s[0:1]
	v_mul_lo_u32 v3, v9, s24
	v_mul_lo_u32 v7, v8, s25
	v_mad_u64_u32 v[12:13], s[0:1], v8, s24, 0
	s_load_dwordx2 s[0:1], s[6:7], 0x0
	s_load_dwordx2 s[24:25], s[2:3], 0x0
	v_add3_u32 v3, v13, v7, v3
	v_sub_co_u32_e32 v7, vcc, v10, v12
	v_subb_co_u32_e32 v3, vcc, v11, v3, vcc
	s_waitcnt lgkmcnt(0)
	v_mul_lo_u32 v10, s0, v3
	v_mul_lo_u32 v11, s1, v7
	v_mad_u64_u32 v[1:2], s[0:1], s0, v7, v[1:2]
	s_add_u32 s22, s22, 1
	s_addc_u32 s23, s23, 0
	s_add_u32 s2, s2, 8
	v_mul_lo_u32 v3, s24, v3
	v_mul_lo_u32 v12, s25, v7
	v_mad_u64_u32 v[4:5], s[0:1], s24, v7, v[4:5]
	v_add3_u32 v2, v11, v2, v10
	s_addc_u32 s3, s3, 0
	v_mov_b32_e32 v10, s14
	s_add_u32 s6, s6, 8
	v_mov_b32_e32 v11, s15
	s_addc_u32 s7, s7, 0
	v_cmp_ge_u64_e32 vcc, s[22:23], v[10:11]
	s_add_u32 s20, s20, 8
	v_add3_u32 v5, v12, v5, v3
	s_addc_u32 s21, s21, 0
	s_cbranch_vccnz .LBB0_9
; %bb.7:                                ;   in Loop: Header=BB0_2 Depth=1
	v_mov_b32_e32 v11, v9
	v_mov_b32_e32 v10, v8
	s_branch .LBB0_2
.LBB0_8:
	v_mov_b32_e32 v5, v2
	v_mov_b32_e32 v8, v10
	;; [unrolled: 1-line block ×4, first 2 shown]
.LBB0_9:
	s_load_dwordx2 s[4:5], s[4:5], 0x28
	s_lshl_b64 s[6:7], s[14:15], 3
	s_add_u32 s2, s18, s6
	s_addc_u32 s3, s19, s7
                                        ; implicit-def: $vgpr6
	s_waitcnt lgkmcnt(0)
	v_cmp_gt_u64_e64 s[0:1], s[4:5], v[8:9]
	v_cmp_le_u64_e32 vcc, s[4:5], v[8:9]
	s_and_saveexec_b64 s[4:5], vcc
	s_xor_b64 s[4:5], exec, s[4:5]
; %bb.10:
	s_mov_b32 s14, 0x2d82d83
	v_mul_hi_u32 v1, v0, s14
	v_mul_u32_u24_e32 v1, 0x5a, v1
	v_sub_u32_e32 v6, v0, v1
                                        ; implicit-def: $vgpr0
                                        ; implicit-def: $vgpr1_vgpr2
; %bb.11:
	s_or_saveexec_b64 s[4:5], s[4:5]
	s_load_dwordx2 s[2:3], s[2:3], 0x0
	s_xor_b64 exec, exec, s[4:5]
	s_cbranch_execz .LBB0_15
; %bb.12:
	s_add_u32 s6, s16, s6
	s_addc_u32 s7, s17, s7
	s_load_dwordx2 s[6:7], s[6:7], 0x0
	s_mov_b32 s14, 0x2d82d83
	v_mul_hi_u32 v3, v0, s14
	v_lshlrev_b64 v[1:2], 3, v[1:2]
	s_waitcnt lgkmcnt(0)
	v_mul_lo_u32 v7, s7, v8
	v_mul_lo_u32 v12, s6, v9
	v_mad_u64_u32 v[10:11], s[6:7], s6, v8, 0
	v_mul_u32_u24_e32 v3, 0x5a, v3
	v_sub_u32_e32 v6, v0, v3
	v_add3_u32 v11, v11, v12, v7
	v_lshlrev_b64 v[10:11], 3, v[10:11]
	v_mov_b32_e32 v0, s9
	v_add_co_u32_e32 v3, vcc, s8, v10
	v_addc_co_u32_e32 v0, vcc, v0, v11, vcc
	v_add_co_u32_e32 v1, vcc, v3, v1
	v_addc_co_u32_e32 v0, vcc, v0, v2, vcc
	v_lshlrev_b32_e32 v7, 3, v6
	v_add_co_u32_e32 v2, vcc, v1, v7
	v_addc_co_u32_e32 v3, vcc, 0, v0, vcc
	s_movk_i32 s6, 0x1000
	v_add_co_u32_e32 v12, vcc, s6, v2
	v_addc_co_u32_e32 v13, vcc, 0, v3, vcc
	s_movk_i32 s6, 0x2000
	global_load_dwordx2 v[10:11], v[2:3], off offset:2160
	global_load_dwordx2 v[14:15], v[2:3], off offset:2880
	global_load_dwordx2 v[16:17], v[2:3], off offset:3600
	global_load_dwordx2 v[18:19], v[12:13], off offset:224
	global_load_dwordx2 v[20:21], v[12:13], off offset:944
	global_load_dwordx2 v[22:23], v[12:13], off offset:1664
	global_load_dwordx2 v[24:25], v[12:13], off offset:2384
	global_load_dwordx2 v[26:27], v[12:13], off offset:3104
	global_load_dwordx2 v[28:29], v[12:13], off offset:3824
	v_add_co_u32_e32 v12, vcc, s6, v2
	v_addc_co_u32_e32 v13, vcc, 0, v3, vcc
	s_movk_i32 s6, 0x3000
	v_add_co_u32_e32 v44, vcc, s6, v2
	global_load_dwordx2 v[30:31], v[12:13], off offset:448
	global_load_dwordx2 v[32:33], v[12:13], off offset:1168
	;; [unrolled: 1-line block ×4, first 2 shown]
	global_load_dwordx2 v[38:39], v[2:3], off
	global_load_dwordx2 v[40:41], v[2:3], off offset:1440
	global_load_dwordx2 v[42:43], v[2:3], off offset:720
	v_addc_co_u32_e32 v45, vcc, 0, v3, vcc
	global_load_dwordx2 v[46:47], v[12:13], off offset:3328
	global_load_dwordx2 v[48:49], v[12:13], off offset:4048
	;; [unrolled: 1-line block ×4, first 2 shown]
	s_movk_i32 s6, 0x4000
	v_add_co_u32_e32 v12, vcc, s6, v2
	v_addc_co_u32_e32 v13, vcc, 0, v3, vcc
	v_add_co_u32_e32 v2, vcc, 0x5000, v2
	v_addc_co_u32_e32 v3, vcc, 0, v3, vcc
	global_load_dwordx2 v[54:55], v[44:45], off offset:2112
	global_load_dwordx2 v[56:57], v[44:45], off offset:2832
	;; [unrolled: 1-line block ×10, first 2 shown]
	v_add_u32_e32 v2, 0, v7
	v_add_u32_e32 v3, 0x400, v2
	;; [unrolled: 1-line block ×9, first 2 shown]
	s_movk_i32 s6, 0x59
	v_cmp_eq_u32_e32 vcc, s6, v6
	s_waitcnt vmcnt(15)
	ds_write2_b64 v3, v[40:41], v[10:11] offset0:52 offset1:142
	ds_write2_b64 v7, v[14:15], v[16:17] offset0:104 offset1:194
	;; [unrolled: 1-line block ×7, first 2 shown]
	v_add_u32_e32 v3, 0x3000, v2
	s_waitcnt vmcnt(12)
	ds_write2_b64 v75, v[46:47], v[48:49] offset0:160 offset1:250
	ds_write2_b64 v2, v[38:39], v[42:43] offset1:90
	s_waitcnt vmcnt(10)
	ds_write2_b64 v3, v[50:51], v[52:53] offset0:84 offset1:174
	v_add_u32_e32 v3, 0x3800, v2
	s_waitcnt vmcnt(8)
	ds_write2_b64 v3, v[54:55], v[56:57] offset0:8 offset1:98
	v_add_u32_e32 v3, 0x3c00, v2
	;; [unrolled: 3-line block ×4, first 2 shown]
	v_add_u32_e32 v2, 0x4c00, v2
	s_waitcnt vmcnt(2)
	ds_write2_b64 v3, v[66:67], v[68:69] offset0:36 offset1:126
	s_waitcnt vmcnt(0)
	ds_write2_b64 v2, v[70:71], v[72:73] offset0:88 offset1:178
	s_and_saveexec_b64 s[6:7], vcc
	s_cbranch_execz .LBB0_14
; %bb.13:
	v_add_co_u32_e32 v1, vcc, 0x5000, v1
	v_addc_co_u32_e32 v2, vcc, 0, v0, vcc
	global_load_dwordx2 v[0:1], v[1:2], off offset:1120
	v_mov_b32_e32 v2, 0
	v_mov_b32_e32 v6, 0x59
	s_waitcnt vmcnt(0)
	ds_write_b64 v2, v[0:1] offset:21600
.LBB0_14:
	s_or_b64 exec, exec, s[6:7]
.LBB0_15:
	s_or_b64 exec, exec, s[4:5]
	v_lshlrev_b32_e32 v0, 3, v6
	v_add_u32_e32 v14, 0, v0
	s_waitcnt lgkmcnt(0)
	s_barrier
	v_sub_u32_e32 v10, 0, v0
	ds_read_b32 v11, v14
	ds_read_b32 v12, v10 offset:21600
	s_add_u32 s6, s12, 0x5448
	s_addc_u32 s7, s13, 0
	v_cmp_ne_u32_e32 vcc, 0, v6
                                        ; implicit-def: $vgpr2_vgpr3
	s_waitcnt lgkmcnt(0)
	v_add_f32_e32 v0, v12, v11
	v_sub_f32_e32 v1, v11, v12
	s_and_saveexec_b64 s[4:5], vcc
	s_xor_b64 s[4:5], exec, s[4:5]
	s_cbranch_execz .LBB0_17
; %bb.16:
	v_mov_b32_e32 v7, 0
	v_lshlrev_b64 v[0:1], 3, v[6:7]
	v_mov_b32_e32 v2, s7
	v_add_co_u32_e32 v0, vcc, s6, v0
	v_addc_co_u32_e32 v1, vcc, v2, v1, vcc
	global_load_dwordx2 v[2:3], v[0:1], off
	ds_read_b32 v0, v10 offset:21604
	ds_read_b32 v1, v14 offset:4
	v_add_f32_e32 v13, v12, v11
	v_sub_f32_e32 v15, v11, v12
	s_waitcnt lgkmcnt(0)
	v_add_f32_e32 v16, v0, v1
	v_sub_f32_e32 v0, v1, v0
	s_waitcnt vmcnt(0)
	v_fma_f32 v17, v15, v3, v13
	v_fma_f32 v1, v16, v3, v0
	v_fma_f32 v11, -v15, v3, v13
	v_fma_f32 v12, v16, v3, -v0
	v_fma_f32 v0, -v2, v16, v17
	v_fmac_f32_e32 v1, v15, v2
	v_fmac_f32_e32 v11, v2, v16
	v_fmac_f32_e32 v12, v15, v2
	v_mov_b32_e32 v2, v6
	ds_write_b64 v10, v[11:12] offset:21600
	v_mov_b32_e32 v3, v7
.LBB0_17:
	s_andn2_saveexec_b64 s[4:5], s[4:5]
	s_cbranch_execz .LBB0_19
; %bb.18:
	v_mov_b32_e32 v7, 0
	ds_read_b64 v[2:3], v7 offset:10800
	s_waitcnt lgkmcnt(0)
	v_add_f32_e32 v11, v2, v2
	v_mul_f32_e32 v12, -2.0, v3
	v_mov_b32_e32 v2, 0
	v_mov_b32_e32 v3, 0
	ds_write_b64 v7, v[11:12] offset:10800
.LBB0_19:
	s_or_b64 exec, exec, s[4:5]
	v_lshlrev_b64 v[2:3], 3, v[2:3]
	v_mov_b32_e32 v7, s7
	v_add_co_u32_e32 v2, vcc, s6, v2
	v_addc_co_u32_e32 v3, vcc, v7, v3, vcc
	global_load_dwordx2 v[11:12], v[2:3], off offset:720
	global_load_dwordx2 v[15:16], v[2:3], off offset:1440
	;; [unrolled: 1-line block ×4, first 2 shown]
	ds_write_b64 v14, v[0:1]
	ds_read_b64 v[0:1], v14 offset:720
	ds_read_b64 v[21:22], v10 offset:20880
	global_load_dwordx2 v[23:24], v[2:3], off offset:3600
	s_movk_i32 s4, 0x1000
	s_movk_i32 s5, 0x2000
	v_mad_u32_u24 v88, v6, 24, 0
	s_waitcnt lgkmcnt(0)
	v_add_f32_e32 v7, v0, v21
	v_add_f32_e32 v13, v22, v1
	v_sub_f32_e32 v25, v0, v21
	v_sub_f32_e32 v0, v1, v22
	v_add_u32_e32 v89, 0x870, v88
	s_mov_b32 s6, 0xaaab
	s_waitcnt vmcnt(4)
	v_fma_f32 v26, v25, v12, v7
	v_fma_f32 v1, v13, v12, v0
	v_fma_f32 v21, -v25, v12, v7
	v_fma_f32 v22, v13, v12, -v0
	v_fma_f32 v0, -v11, v13, v26
	v_fmac_f32_e32 v1, v25, v11
	v_fmac_f32_e32 v21, v11, v13
	;; [unrolled: 1-line block ×3, first 2 shown]
	ds_write_b64 v14, v[0:1] offset:720
	ds_write_b64 v10, v[21:22] offset:20880
	v_add_co_u32_e32 v21, vcc, s4, v2
	v_addc_co_u32_e32 v22, vcc, 0, v3, vcc
	ds_read_b64 v[0:1], v14 offset:1440
	ds_read_b64 v[11:12], v10 offset:20160
	global_load_dwordx2 v[25:26], v[21:22], off offset:224
	v_add_co_u32_e32 v2, vcc, s5, v2
	v_addc_co_u32_e32 v3, vcc, 0, v3, vcc
	s_waitcnt lgkmcnt(0)
	v_add_f32_e32 v7, v0, v11
	v_add_f32_e32 v13, v12, v1
	v_sub_f32_e32 v27, v0, v11
	v_sub_f32_e32 v0, v1, v12
	s_waitcnt vmcnt(4)
	v_fma_f32 v28, v27, v16, v7
	v_fma_f32 v1, v13, v16, v0
	v_fma_f32 v11, -v27, v16, v7
	v_fma_f32 v12, v13, v16, -v0
	v_fma_f32 v0, -v15, v13, v28
	v_fmac_f32_e32 v1, v27, v15
	v_fmac_f32_e32 v11, v15, v13
	;; [unrolled: 1-line block ×3, first 2 shown]
	ds_write_b64 v14, v[0:1] offset:1440
	ds_write_b64 v10, v[11:12] offset:20160
	ds_read_b64 v[0:1], v14 offset:2160
	ds_read_b64 v[11:12], v10 offset:19440
	global_load_dwordx2 v[15:16], v[21:22], off offset:944
	s_movk_i32 s5, 0xab
	s_waitcnt lgkmcnt(0)
	v_add_f32_e32 v7, v0, v11
	v_add_f32_e32 v13, v12, v1
	v_sub_f32_e32 v27, v0, v11
	v_sub_f32_e32 v0, v1, v12
	s_waitcnt vmcnt(4)
	v_fma_f32 v28, v27, v18, v7
	v_fma_f32 v1, v13, v18, v0
	v_fma_f32 v11, -v27, v18, v7
	v_fma_f32 v12, v13, v18, -v0
	v_fma_f32 v0, -v17, v13, v28
	v_fmac_f32_e32 v1, v27, v17
	v_fmac_f32_e32 v11, v17, v13
	v_fmac_f32_e32 v12, v27, v17
	ds_write_b64 v14, v[0:1] offset:2160
	ds_write_b64 v10, v[11:12] offset:19440
	ds_read_b64 v[0:1], v14 offset:2880
	ds_read_b64 v[11:12], v10 offset:18720
	global_load_dwordx2 v[17:18], v[21:22], off offset:1664
	s_waitcnt lgkmcnt(0)
	v_add_f32_e32 v7, v0, v11
	v_add_f32_e32 v13, v12, v1
	v_sub_f32_e32 v27, v0, v11
	v_sub_f32_e32 v0, v1, v12
	s_waitcnt vmcnt(4)
	v_fma_f32 v28, v27, v20, v7
	v_fma_f32 v1, v13, v20, v0
	v_fma_f32 v11, -v27, v20, v7
	v_fma_f32 v12, v13, v20, -v0
	v_fma_f32 v0, -v19, v13, v28
	v_fmac_f32_e32 v1, v27, v19
	v_fmac_f32_e32 v11, v19, v13
	v_fmac_f32_e32 v12, v27, v19
	ds_write_b64 v14, v[0:1] offset:2880
	ds_write_b64 v10, v[11:12] offset:18720
	ds_read_b64 v[0:1], v14 offset:3600
	ds_read_b64 v[11:12], v10 offset:18000
	global_load_dwordx2 v[19:20], v[21:22], off offset:2384
	;; [unrolled: 19-line block ×4, first 2 shown]
	s_waitcnt lgkmcnt(0)
	v_add_f32_e32 v7, v0, v11
	v_add_f32_e32 v13, v12, v1
	v_sub_f32_e32 v25, v0, v11
	v_sub_f32_e32 v0, v1, v12
	s_waitcnt vmcnt(4)
	v_fma_f32 v26, v25, v16, v7
	v_fma_f32 v1, v13, v16, v0
	v_fma_f32 v11, -v25, v16, v7
	v_fma_f32 v12, v13, v16, -v0
	v_fma_f32 v0, -v15, v13, v26
	v_fmac_f32_e32 v1, v25, v15
	v_fmac_f32_e32 v11, v15, v13
	;; [unrolled: 1-line block ×3, first 2 shown]
	ds_write_b64 v14, v[0:1] offset:5040
	ds_write_b64 v10, v[11:12] offset:16560
	ds_read_b64 v[0:1], v14 offset:5760
	ds_read_b64 v[11:12], v10 offset:15840
	v_add_u32_e32 v25, 0x800, v14
	s_waitcnt lgkmcnt(0)
	v_add_f32_e32 v7, v0, v11
	v_add_f32_e32 v13, v12, v1
	v_sub_f32_e32 v15, v0, v11
	v_sub_f32_e32 v16, v1, v12
	global_load_dwordx2 v[11:12], v[2:3], off offset:448
	s_waitcnt vmcnt(4)
	v_fma_f32 v0, v15, v18, v7
	v_fma_f32 v1, v13, v18, v16
	v_fma_f32 v0, -v17, v13, v0
	v_fmac_f32_e32 v1, v15, v17
	ds_write_b64 v14, v[0:1] offset:5760
	v_fma_f32 v0, -v15, v18, v7
	v_fma_f32 v1, v13, v18, -v16
	v_fmac_f32_e32 v0, v17, v13
	v_fmac_f32_e32 v1, v15, v17
	ds_write_b64 v10, v[0:1] offset:15840
	ds_read_b64 v[0:1], v14 offset:6480
	ds_read_b64 v[15:16], v10 offset:15120
	s_waitcnt lgkmcnt(0)
	v_add_f32_e32 v7, v0, v15
	v_add_f32_e32 v13, v16, v1
	v_sub_f32_e32 v17, v0, v15
	v_sub_f32_e32 v18, v1, v16
	global_load_dwordx2 v[15:16], v[2:3], off offset:1168
	s_waitcnt vmcnt(4)
	v_fma_f32 v0, v17, v20, v7
	v_fma_f32 v1, v13, v20, v18
	v_fma_f32 v0, -v19, v13, v0
	v_fmac_f32_e32 v1, v17, v19
	ds_write_b64 v14, v[0:1] offset:6480
	v_fma_f32 v0, -v17, v20, v7
	v_fma_f32 v1, v13, v20, -v18
	v_fmac_f32_e32 v0, v19, v13
	v_fmac_f32_e32 v1, v17, v19
	ds_write_b64 v10, v[0:1] offset:15120
	ds_read_b64 v[0:1], v14 offset:7200
	ds_read_b64 v[17:18], v10 offset:14400
	v_add_u32_e32 v20, 0x3800, v14
	s_waitcnt lgkmcnt(0)
	v_add_f32_e32 v7, v0, v17
	v_add_f32_e32 v13, v18, v1
	v_sub_f32_e32 v17, v0, v17
	v_sub_f32_e32 v18, v1, v18
	global_load_dwordx2 v[0:1], v[2:3], off offset:1888
	s_waitcnt vmcnt(4)
	v_fma_f32 v19, v17, v24, v7
	v_fma_f32 v3, v13, v24, v18
	v_fma_f32 v2, -v23, v13, v19
	v_fmac_f32_e32 v3, v17, v23
	ds_write_b64 v14, v[2:3] offset:7200
	v_fma_f32 v2, -v17, v24, v7
	v_fma_f32 v3, v13, v24, -v18
	v_fmac_f32_e32 v2, v23, v13
	v_fmac_f32_e32 v3, v17, v23
	ds_write_b64 v10, v[2:3] offset:14400
	ds_read_b64 v[2:3], v14 offset:7920
	ds_read_b64 v[17:18], v10 offset:13680
	v_add_u32_e32 v23, 0x2000, v14
	v_add_u32_e32 v24, 0x2400, v14
	s_waitcnt lgkmcnt(0)
	v_add_f32_e32 v7, v2, v17
	v_add_f32_e32 v13, v18, v3
	v_sub_f32_e32 v17, v2, v17
	v_sub_f32_e32 v18, v3, v18
	s_waitcnt vmcnt(3)
	v_fma_f32 v2, v17, v22, v7
	v_fma_f32 v3, v13, v22, v18
	v_fma_f32 v2, -v21, v13, v2
	v_fmac_f32_e32 v3, v17, v21
	ds_write_b64 v14, v[2:3] offset:7920
	v_fma_f32 v2, -v17, v22, v7
	v_fma_f32 v3, v13, v22, -v18
	v_fmac_f32_e32 v2, v21, v13
	v_fmac_f32_e32 v3, v17, v21
	ds_write_b64 v10, v[2:3] offset:13680
	ds_read_b64 v[2:3], v14 offset:8640
	ds_read_b64 v[17:18], v10 offset:12960
	v_add_u32_e32 v22, 0x400, v14
	s_waitcnt lgkmcnt(0)
	v_add_f32_e32 v7, v2, v17
	v_add_f32_e32 v13, v18, v3
	v_sub_f32_e32 v17, v2, v17
	v_sub_f32_e32 v18, v3, v18
	s_waitcnt vmcnt(2)
	v_fma_f32 v2, v17, v12, v7
	v_fma_f32 v3, v13, v12, v18
	v_fma_f32 v2, -v11, v13, v2
	v_fmac_f32_e32 v3, v17, v11
	ds_write_b64 v14, v[2:3] offset:8640
	v_fma_f32 v2, -v17, v12, v7
	v_fma_f32 v3, v13, v12, -v18
	v_fmac_f32_e32 v2, v11, v13
	v_fmac_f32_e32 v3, v17, v11
	ds_write_b64 v10, v[2:3] offset:12960
	ds_read_b64 v[2:3], v14 offset:9360
	ds_read_b64 v[11:12], v10 offset:12240
	;; [unrolled: 19-line block ×3, first 2 shown]
	s_waitcnt lgkmcnt(0)
	v_add_f32_e32 v7, v2, v11
	v_add_f32_e32 v13, v12, v3
	v_sub_f32_e32 v11, v2, v11
	v_sub_f32_e32 v12, v3, v12
	s_waitcnt vmcnt(0)
	v_fma_f32 v2, v11, v1, v7
	v_fma_f32 v3, v13, v1, v12
	v_fma_f32 v2, -v0, v13, v2
	v_fmac_f32_e32 v3, v11, v0
	ds_write_b64 v14, v[2:3] offset:10080
	v_fma_f32 v2, -v11, v1, v7
	v_fma_f32 v3, v13, v1, -v12
	v_fmac_f32_e32 v2, v0, v13
	v_fmac_f32_e32 v3, v11, v0
	ds_write_b64 v10, v[2:3] offset:11520
	s_waitcnt lgkmcnt(0)
	s_barrier
	s_barrier
	ds_read2_b64 v[0:3], v14 offset1:90
	ds_read2_b64 v[10:13], v18 offset0:132 offset1:222
	ds_read2_b64 v[26:29], v20 offset0:8 offset1:98
	s_waitcnt lgkmcnt(1)
	v_add_f32_e32 v7, v0, v10
	s_waitcnt lgkmcnt(0)
	v_add_f32_e32 v74, v10, v26
	v_sub_f32_e32 v75, v11, v27
	v_add_f32_e32 v15, v1, v11
	v_add_f32_e32 v76, v11, v27
	v_sub_f32_e32 v77, v10, v26
	v_add_f32_e32 v16, v2, v12
	;; [unrolled: 3-line block ×4, first 2 shown]
	ds_read2_b64 v[10:13], v22 offset0:52 offset1:142
	v_add_u32_e32 v26, 0x3c00, v14
	ds_read2_b64 v[30:33], v23 offset0:56 offset1:146
	ds_read2_b64 v[34:37], v26 offset0:60 offset1:150
	v_fma_f32 v2, -0.5, v17, v2
	v_fmac_f32_e32 v3, -0.5, v21
	v_mov_b32_e32 v72, v2
	v_mov_b32_e32 v73, v3
	s_waitcnt lgkmcnt(0)
	v_add_f32_e32 v80, v30, v34
	v_add_f32_e32 v82, v31, v35
	;; [unrolled: 1-line block ×9, first 2 shown]
	v_fmac_f32_e32 v72, 0xbf5db3d7, v78
	v_fmac_f32_e32 v73, 0x3f5db3d7, v79
	v_fma_f32 v10, -0.5, v80, v10
	v_fma_f32 v11, -0.5, v82, v11
	v_sub_f32_e32 v81, v31, v35
	v_sub_f32_e32 v83, v30, v34
	v_add_f32_e32 v84, v32, v36
	v_sub_f32_e32 v85, v33, v37
	v_add_f32_e32 v86, v33, v37
	;; [unrolled: 2-line block ×3, first 2 shown]
	v_add_f32_e32 v69, v15, v35
	v_add_f32_e32 v70, v16, v36
	v_add_f32_e32 v71, v19, v37
	v_add_u32_e32 v27, 0x4000, v14
	v_add_u32_e32 v21, 0x1000, v14
	v_add_u32_e32 v19, 0x2800, v14
	v_add_u32_e32 v17, 0x4800, v14
	v_add_u32_e32 v16, 0x1400, v14
	v_add_u32_e32 v15, 0x3000, v14
	v_add_u32_e32 v7, 0x4c00, v14
	ds_read2_b64 v[28:31], v25 offset0:104 offset1:194
	ds_read2_b64 v[32:35], v24 offset0:108 offset1:198
	;; [unrolled: 1-line block ×9, first 2 shown]
	s_waitcnt lgkmcnt(0)
	s_barrier
	ds_write2_b64 v89, v[66:67], v[72:73] offset1:1
	v_mov_b32_e32 v66, v10
	v_mov_b32_e32 v67, v11
	v_fmac_f32_e32 v66, 0xbf5db3d7, v81
	v_fmac_f32_e32 v67, 0x3f5db3d7, v83
	v_add_u32_e32 v72, 0x10e0, v88
	v_fma_f32 v12, -0.5, v84, v12
	v_fmac_f32_e32 v13, -0.5, v86
	ds_write2_b64 v72, v[68:69], v[66:67] offset1:1
	v_mov_b32_e32 v66, v12
	v_mov_b32_e32 v67, v13
	v_fmac_f32_e32 v66, 0xbf5db3d7, v85
	v_fmac_f32_e32 v67, 0x3f5db3d7, v87
	v_add_u32_e32 v68, 0x1950, v88
	ds_write2_b64 v68, v[70:71], v[66:67] offset1:1
	v_add_f32_e32 v68, v32, v36
	v_add_f32_e32 v66, v28, v32
	v_fma_f32 v28, -0.5, v68, v28
	v_add_f32_e32 v68, v33, v37
	v_add_f32_e32 v67, v29, v33
	v_fma_f32 v29, -0.5, v68, v29
	v_add_f32_e32 v66, v66, v36
	v_add_f32_e32 v67, v67, v37
	v_sub_f32_e32 v37, v33, v37
	v_mov_b32_e32 v68, v28
	v_mov_b32_e32 v69, v29
	v_sub_f32_e32 v36, v32, v36
	v_fmac_f32_e32 v68, 0xbf5db3d7, v37
	v_fmac_f32_e32 v69, 0x3f5db3d7, v36
	v_add_u32_e32 v32, 0x21c0, v88
	ds_write2_b64 v32, v[66:67], v[68:69] offset1:1
	v_add_f32_e32 v32, v30, v34
	v_add_f32_e32 v33, v31, v35
	;; [unrolled: 1-line block ×3, first 2 shown]
	v_sub_f32_e32 v67, v35, v39
	v_add_f32_e32 v35, v35, v39
	v_sub_f32_e32 v34, v34, v38
	v_add_f32_e32 v38, v32, v38
	v_add_f32_e32 v39, v33, v39
	;; [unrolled: 1-line block ×5, first 2 shown]
	v_sub_f32_e32 v69, v45, v49
	v_add_f32_e32 v45, v45, v49
	v_sub_f32_e32 v44, v44, v48
	v_add_f32_e32 v70, v42, v46
	v_add_f32_e32 v73, v43, v47
	v_add_f32_e32 v48, v32, v48
	v_add_f32_e32 v49, v33, v49
	v_add_f32_e32 v32, v52, v56
	v_add_f32_e32 v33, v53, v57
	v_fma_f32 v0, -0.5, v74, v0
	v_fma_f32 v1, -0.5, v76, v1
	v_fmac_f32_e32 v2, 0x3f5db3d7, v78
	v_fmac_f32_e32 v3, 0xbf5db3d7, v79
	v_add_f32_e32 v71, v46, v50
	v_sub_f32_e32 v72, v47, v51
	v_add_f32_e32 v47, v47, v51
	v_sub_f32_e32 v46, v46, v50
	v_add_f32_e32 v50, v70, v50
	v_add_f32_e32 v51, v73, v51
	;; [unrolled: 1-line block ×3, first 2 shown]
	v_sub_f32_e32 v73, v57, v61
	v_add_f32_e32 v57, v57, v61
	v_sub_f32_e32 v56, v56, v60
	v_add_f32_e32 v60, v32, v60
	v_add_f32_e32 v61, v33, v61
	v_mov_b32_e32 v32, v0
	v_mov_b32_e32 v33, v1
	ds_write_b64 v88, v[2:3] offset:2176
	v_fma_f32 v2, -0.5, v66, v30
	v_fmac_f32_e32 v0, 0x3f5db3d7, v75
	v_fmac_f32_e32 v1, 0xbf5db3d7, v77
	v_fmac_f32_e32 v31, -0.5, v35
	ds_write_b64 v88, v[0:1] offset:16
	v_mov_b32_e32 v0, v2
	v_fmac_f32_e32 v32, 0xbf5db3d7, v75
	v_fmac_f32_e32 v33, 0x3f5db3d7, v77
	;; [unrolled: 1-line block ×4, first 2 shown]
	v_mov_b32_e32 v3, v31
	v_fmac_f32_e32 v31, 0xbf5db3d7, v34
	v_fmac_f32_e32 v10, 0x3f5db3d7, v81
	;; [unrolled: 1-line block ×6, first 2 shown]
	v_add_u32_e32 v1, 0x2a34, v88
	ds_write2_b64 v88, v[64:65], v[32:33] offset1:1
	ds_write_b64 v88, v[12:13] offset:6496
	ds_write_b32 v88, v31 offset:10820
	ds_write_b64 v88, v[10:11] offset:4336
	ds_write_b64 v88, v[28:29] offset:8656
	ds_write_b32 v88, v38 offset:10800
	ds_write2_b32 v1, v39, v0 offset1:1
	v_fmac_f32_e32 v2, 0x3f5db3d7, v67
	v_fmac_f32_e32 v3, 0x3f5db3d7, v34
	v_add_u32_e32 v0, 0x2a3c, v88
	ds_write2_b32 v0, v3, v2 offset1:1
	ds_write_b32 v88, v48 offset:12960
	v_fma_f32 v0, -0.5, v68, v40
	v_mov_b32_e32 v1, v0
	v_fmac_f32_e32 v1, 0xbf5db3d7, v69
	v_add_u32_e32 v2, 0x32a4, v88
	ds_write2_b32 v2, v49, v1 offset1:1
	v_fma_f32 v1, -0.5, v45, v41
	v_mov_b32_e32 v2, v1
	v_fmac_f32_e32 v0, 0x3f5db3d7, v69
	v_fmac_f32_e32 v2, 0x3f5db3d7, v44
	v_add_u32_e32 v3, 0x32ac, v88
	v_fmac_f32_e32 v43, -0.5, v47
	ds_write2_b32 v3, v2, v0 offset1:1
	v_fma_f32 v0, -0.5, v71, v42
	v_mov_b32_e32 v2, v43
	v_fmac_f32_e32 v43, 0xbf5db3d7, v46
	v_fmac_f32_e32 v1, 0xbf5db3d7, v44
	ds_write_b32 v88, v43 offset:15140
	ds_write_b32 v88, v1 offset:12980
	;; [unrolled: 1-line block ×3, first 2 shown]
	v_mov_b32_e32 v1, v0
	v_fmac_f32_e32 v1, 0xbf5db3d7, v72
	v_add_u32_e32 v3, 0x3b14, v88
	ds_write2_b32 v3, v51, v1 offset1:1
	v_fmac_f32_e32 v0, 0x3f5db3d7, v72
	v_fmac_f32_e32 v2, 0x3f5db3d7, v46
	v_add_u32_e32 v1, 0x3b1c, v88
	ds_write2_b32 v1, v2, v0 offset1:1
	ds_write_b32 v88, v60 offset:17280
	v_fma_f32 v0, -0.5, v70, v52
	v_mov_b32_e32 v1, v0
	v_fmac_f32_e32 v1, 0xbf5db3d7, v73
	v_add_u32_e32 v2, 0x4384, v88
	ds_write2_b32 v2, v61, v1 offset1:1
	v_fma_f32 v1, -0.5, v57, v53
	v_mov_b32_e32 v2, v1
	v_add_f32_e32 v82, v58, v62
	v_fmac_f32_e32 v0, 0x3f5db3d7, v73
	v_fmac_f32_e32 v2, 0x3f5db3d7, v56
	v_add_u32_e32 v3, 0x438c, v88
	v_sub_f32_e32 v84, v59, v63
	v_add_f32_e32 v86, v55, v59
	v_add_f32_e32 v59, v59, v63
	ds_write2_b32 v3, v2, v0 offset1:1
	v_fma_f32 v0, -0.5, v82, v54
	v_add_f32_e32 v80, v54, v58
	v_fmac_f32_e32 v1, 0xbf5db3d7, v56
	v_mov_b32_e32 v2, v0
	v_fmac_f32_e32 v55, -0.5, v59
	v_sub_f32_e32 v58, v58, v62
	v_add_f32_e32 v62, v80, v62
	v_add_f32_e32 v63, v86, v63
	v_fmac_f32_e32 v2, 0xbf5db3d7, v84
	v_mov_b32_e32 v3, v55
	ds_write_b32 v88, v1 offset:17300
	v_add_u32_e32 v1, 0x4bf4, v88
	v_fmac_f32_e32 v0, 0x3f5db3d7, v84
	v_fmac_f32_e32 v3, 0x3f5db3d7, v58
	v_add_u32_e32 v10, 0x5a, v6
	ds_write_b32 v88, v62 offset:19440
	ds_write2_b32 v1, v63, v2 offset1:1
	v_add_u32_e32 v1, 0x4bfc, v88
	v_fmac_f32_e32 v55, 0xbf5db3d7, v58
	ds_write2_b32 v1, v3, v0 offset1:1
	ds_write_b32 v88, v55 offset:19460
	v_mul_lo_u16_sdwa v0, v10, s5 dst_sel:DWORD dst_unused:UNUSED_PAD src0_sel:BYTE_0 src1_sel:DWORD
	v_lshrrev_b16_e32 v30, 9, v0
	v_mul_lo_u16_e32 v0, 3, v30
	v_mov_b32_e32 v13, 9
	v_sub_u16_e32 v31, v10, v0
	v_mul_u32_u24_sdwa v0, v31, v13 dst_sel:DWORD dst_unused:UNUSED_PAD src0_sel:BYTE_0 src1_sel:DWORD
	v_add_u32_e32 v12, 0xb4, v6
	v_lshlrev_b32_e32 v40, 3, v0
	v_mul_u32_u24_sdwa v0, v12, s6 dst_sel:DWORD dst_unused:UNUSED_PAD src0_sel:WORD_0 src1_sel:DWORD
	v_lshrrev_b32_e32 v28, 17, v0
	v_mul_lo_u16_e32 v0, 3, v28
	v_sub_u16_e32 v29, v12, v0
	s_waitcnt lgkmcnt(0)
	s_barrier
	global_load_dwordx2 v[36:37], v40, s[12:13] offset:64
	v_mul_u32_u24_e32 v0, 9, v29
	v_lshlrev_b32_e32 v50, 3, v0
	global_load_dwordx2 v[38:39], v50, s[12:13] offset:64
	v_mul_lo_u16_sdwa v0, v6, s5 dst_sel:DWORD dst_unused:UNUSED_PAD src0_sel:BYTE_0 src1_sel:DWORD
	v_lshrrev_b16_e32 v11, 9, v0
	v_mul_lo_u16_e32 v0, 3, v11
	v_sub_u16_e32 v58, v6, v0
	v_mul_u32_u24_sdwa v0, v58, v13 dst_sel:DWORD dst_unused:UNUSED_PAD src0_sel:BYTE_0 src1_sel:DWORD
	v_lshlrev_b32_e32 v67, 3, v0
	global_load_dwordx2 v[56:57], v67, s[12:13] offset:64
	global_load_dwordx4 v[0:3], v50, s[12:13] offset:48
	global_load_dwordx4 v[42:45], v40, s[12:13] offset:48
	;; [unrolled: 1-line block ×7, first 2 shown]
	ds_read2_b64 v[32:35], v7 offset0:88 offset1:178
	global_load_dwordx4 v[88:91], v40, s[12:13] offset:16
	ds_read2_b64 v[52:55], v17 offset0:36 offset1:126
	global_load_dwordx4 v[92:95], v67, s[12:13] offset:16
	global_load_dwordx4 v[96:99], v40, s[12:13]
	global_load_dwordx4 v[100:103], v50, s[12:13]
	;; [unrolled: 1-line block ×3, first 2 shown]
	ds_read2_b64 v[75:78], v20 offset0:8 offset1:98
	s_movk_i32 s5, 0x89
	s_mov_b32 s6, 0x8889
	s_waitcnt vmcnt(14) lgkmcnt(2)
	v_mul_f32_e32 v41, v33, v37
	v_fmac_f32_e32 v41, v32, v36
	v_mul_f32_e32 v32, v32, v37
	v_fma_f32 v51, v33, v36, -v32
	s_waitcnt vmcnt(13)
	v_mul_f32_e32 v33, v35, v39
	v_fmac_f32_e32 v33, v34, v38
	v_mul_f32_e32 v32, v34, v39
	s_waitcnt vmcnt(12) lgkmcnt(1)
	v_mul_f32_e32 v70, v55, v57
	v_mul_f32_e32 v34, v54, v57
	v_fmac_f32_e32 v70, v54, v56
	v_fma_f32 v69, v55, v56, -v34
	ds_read2_b64 v[54:57], v26 offset0:60 offset1:150
	v_fma_f32 v32, v35, v38, -v32
	s_waitcnt vmcnt(11)
	v_mul_f32_e32 v37, v53, v3
	v_mul_f32_e32 v3, v52, v3
	v_fmac_f32_e32 v37, v52, v2
	s_waitcnt lgkmcnt(0)
	v_mul_f32_e32 v35, v57, v1
	v_mul_f32_e32 v1, v56, v1
	v_fma_f32 v36, v53, v2, -v3
	v_fmac_f32_e32 v35, v56, v0
	v_fma_f32 v34, v57, v0, -v1
	ds_read2_b64 v[0:3], v27 offset0:112 offset1:202
	s_waitcnt vmcnt(10)
	v_mul_f32_e32 v53, v55, v43
	v_fmac_f32_e32 v53, v54, v42
	v_mul_f32_e32 v38, v54, v43
	s_waitcnt vmcnt(9)
	v_mul_f32_e32 v72, v78, v47
	s_waitcnt lgkmcnt(0)
	v_mul_f32_e32 v73, v1, v49
	v_mul_f32_e32 v56, v3, v45
	v_fmac_f32_e32 v73, v0, v48
	v_mul_f32_e32 v0, v0, v49
	v_fmac_f32_e32 v56, v2, v44
	v_mul_f32_e32 v2, v2, v45
	v_fma_f32 v74, v1, v48, -v0
	v_mul_f32_e32 v0, v77, v47
	v_fma_f32 v54, v3, v44, -v2
	v_fma_f32 v71, v78, v46, -v0
	ds_read2_b64 v[0:3], v19 offset0:160 offset1:250
	v_fmac_f32_e32 v72, v77, v46
	ds_read2_b64 v[44:47], v15 offset0:84 offset1:174
	v_fma_f32 v52, v55, v42, -v38
	s_waitcnt vmcnt(8)
	v_mul_f32_e32 v38, v75, v62
	s_waitcnt vmcnt(7) lgkmcnt(1)
	v_mul_f32_e32 v57, v1, v64
	v_mul_f32_e32 v39, v3, v60
	v_fmac_f32_e32 v57, v0, v63
	v_mul_f32_e32 v0, v0, v64
	v_fmac_f32_e32 v39, v2, v59
	v_mul_f32_e32 v2, v2, v60
	v_fma_f32 v55, v1, v63, -v0
	s_waitcnt lgkmcnt(0)
	v_mul_f32_e32 v0, v46, v66
	v_fma_f32 v40, v76, v61, -v38
	v_fma_f32 v38, v3, v59, -v2
	;; [unrolled: 1-line block ×3, first 2 shown]
	ds_read2_b64 v[0:3], v24 offset0:108 offset1:198
	v_mul_f32_e32 v63, v47, v66
	v_fmac_f32_e32 v63, v46, v65
	ds_read2_b64 v[64:67], v18 offset0:132 offset1:222
	v_mul_f32_e32 v43, v76, v62
	s_waitcnt vmcnt(5) lgkmcnt(1)
	v_mul_f32_e32 v48, v1, v87
	v_mul_f32_e32 v76, v3, v81
	v_fmac_f32_e32 v48, v0, v86
	v_mul_f32_e32 v0, v0, v87
	v_mul_f32_e32 v42, v44, v83
	v_fmac_f32_e32 v76, v2, v80
	v_mul_f32_e32 v2, v2, v81
	v_fma_f32 v47, v1, v86, -v0
	s_waitcnt lgkmcnt(0)
	v_mul_f32_e32 v0, v66, v85
	v_fmac_f32_e32 v43, v75, v61
	v_fma_f32 v77, v45, v82, -v42
	v_fma_f32 v75, v3, v80, -v2
	;; [unrolled: 1-line block ×3, first 2 shown]
	ds_read2_b64 v[0:3], v23 offset0:56 offset1:146
	v_mul_f32_e32 v79, v45, v83
	v_mul_f32_e32 v45, v67, v85
	v_fmac_f32_e32 v45, v66, v84
	ds_read2_b64 v[84:87], v16 offset0:80 offset1:170
	s_waitcnt vmcnt(3) lgkmcnt(1)
	v_mul_f32_e32 v83, v1, v95
	v_mul_f32_e32 v66, v3, v91
	v_fmac_f32_e32 v83, v0, v94
	v_mul_f32_e32 v0, v0, v95
	v_fmac_f32_e32 v79, v44, v82
	;; [unrolled: 2-line block ×3, first 2 shown]
	v_mul_f32_e32 v2, v2, v91
	v_fma_f32 v82, v1, v94, -v0
	s_waitcnt lgkmcnt(0)
	v_mul_f32_e32 v0, v86, v93
	v_mul_f32_e32 v62, v65, v89
	v_fma_f32 v59, v65, v88, -v44
	v_fma_f32 v65, v3, v90, -v2
	;; [unrolled: 1-line block ×3, first 2 shown]
	ds_read2_b64 v[0:3], v25 offset0:104 offset1:194
	v_mul_f32_e32 v80, v87, v93
	s_waitcnt vmcnt(1)
	v_mul_f32_e32 v50, v85, v103
	v_mul_f32_e32 v44, v84, v103
	v_fmac_f32_e32 v80, v86, v92
	v_fmac_f32_e32 v50, v84, v102
	v_fma_f32 v49, v85, v102, -v44
	ds_read2_b64 v[84:87], v21 offset0:28 offset1:118
	s_waitcnt lgkmcnt(1)
	v_mul_f32_e32 v61, v1, v97
	v_mul_f32_e32 v44, v3, v101
	v_fmac_f32_e32 v61, v0, v96
	v_mul_f32_e32 v0, v0, v97
	v_fmac_f32_e32 v62, v64, v88
	v_fmac_f32_e32 v44, v2, v100
	v_mul_f32_e32 v2, v2, v101
	v_fma_f32 v64, v1, v96, -v0
	s_waitcnt lgkmcnt(0)
	v_mul_f32_e32 v0, v86, v99
	v_fma_f32 v46, v3, v100, -v2
	v_fma_f32 v67, v87, v98, -v0
	ds_read2_b64 v[0:3], v22 offset0:52 offset1:142
	v_mul_f32_e32 v68, v87, v99
	v_fmac_f32_e32 v68, v86, v98
	s_waitcnt vmcnt(0)
	v_mul_f32_e32 v86, v85, v107
	v_mul_f32_e32 v81, v84, v107
	v_fmac_f32_e32 v86, v84, v106
	v_fma_f32 v84, v85, v106, -v81
	s_waitcnt lgkmcnt(0)
	v_mul_f32_e32 v81, v105, v3
	v_fmac_f32_e32 v81, v104, v2
	v_mul_f32_e32 v2, v105, v2
	v_fma_f32 v3, v104, v3, -v2
	v_sub_f32_e32 v2, v86, v83
	v_sub_f32_e32 v85, v73, v79
	v_add_f32_e32 v2, v2, v85
	v_sub_f32_e32 v85, v84, v82
	v_sub_f32_e32 v87, v74, v77
	v_add_f32_e32 v85, v85, v87
	;; [unrolled: 3-line block ×4, first 2 shown]
	v_add_f32_e32 v89, v88, v89
	v_add_f32_e32 v88, v76, v72
	v_fma_f32 v90, -0.5, v90, v3
	v_fma_f32 v88, -0.5, v88, v81
	v_sub_f32_e32 v93, v80, v70
	v_mov_b32_e32 v96, v90
	v_sub_f32_e32 v91, v78, v69
	v_mov_b32_e32 v97, v88
	v_fmac_f32_e32 v96, 0x3f737871, v93
	v_sub_f32_e32 v94, v76, v72
	v_fmac_f32_e32 v97, 0xbf737871, v91
	v_sub_f32_e32 v92, v75, v71
	v_fmac_f32_e32 v96, 0x3f167918, v94
	v_fmac_f32_e32 v97, 0xbf167918, v92
	;; [unrolled: 1-line block ×4, first 2 shown]
	v_mul_f32_e32 v95, 0xbf167918, v96
	v_mul_f32_e32 v96, 0x3f4f1bbd, v96
	v_fmac_f32_e32 v95, 0x3f4f1bbd, v97
	v_fmac_f32_e32 v96, 0x3f167918, v97
	ds_read2_b64 v[97:100], v14 offset1:90
	v_mul_u32_u24_e32 v101, 0xf0, v11
	v_mov_b32_e32 v11, 3
	v_lshlrev_b32_sdwa v58, v11, v58 dst_sel:DWORD dst_unused:UNUSED_PAD src0_sel:DWORD src1_sel:BYTE_0
	v_add3_u32 v58, 0, v101, v58
	s_waitcnt lgkmcnt(0)
	v_add_f32_e32 v101, v97, v86
	v_add_f32_e32 v101, v101, v83
	;; [unrolled: 1-line block ×5, first 2 shown]
	v_sub_f32_e32 v112, v86, v73
	v_sub_f32_e32 v114, v83, v79
	;; [unrolled: 1-line block ×3, first 2 shown]
	v_add_f32_e32 v86, v86, v73
	v_sub_f32_e32 v73, v79, v73
	v_fma_f32 v79, -0.5, v86, v97
	v_fma_f32 v106, -0.5, v101, v97
	v_sub_f32_e32 v109, v82, v77
	v_add_f32_e32 v101, v98, v84
	v_add_f32_e32 v73, v83, v73
	v_mov_b32_e32 v83, v79
	v_sub_f32_e32 v107, v84, v74
	v_add_f32_e32 v101, v101, v82
	v_fmac_f32_e32 v83, 0x3f737871, v109
	v_fmac_f32_e32 v79, 0xbf737871, v109
	v_add_f32_e32 v101, v101, v77
	v_fmac_f32_e32 v83, 0xbf167918, v107
	v_fmac_f32_e32 v79, 0x3f167918, v107
	v_add_f32_e32 v110, v101, v74
	v_add_f32_e32 v101, v82, v77
	v_fmac_f32_e32 v83, 0x3e9e377a, v73
	v_fmac_f32_e32 v79, 0x3e9e377a, v73
	v_sub_f32_e32 v73, v82, v84
	v_add_f32_e32 v82, v84, v74
	v_sub_f32_e32 v74, v77, v74
	v_add_f32_e32 v73, v73, v74
	v_fma_f32 v74, -0.5, v82, v98
	v_mov_b32_e32 v77, v74
	v_fmac_f32_e32 v77, 0xbf737871, v114
	v_fmac_f32_e32 v74, 0x3f737871, v114
	v_fma_f32 v111, -0.5, v101, v98
	v_add_f32_e32 v101, v81, v80
	v_fmac_f32_e32 v77, 0x3f167918, v112
	v_fmac_f32_e32 v74, 0xbf167918, v112
	v_add_f32_e32 v101, v101, v76
	v_fmac_f32_e32 v77, 0x3e9e377a, v73
	v_fmac_f32_e32 v74, 0x3e9e377a, v73
	v_add_f32_e32 v73, v80, v70
	v_add_f32_e32 v101, v101, v72
	v_fmac_f32_e32 v81, -0.5, v73
	v_add_f32_e32 v115, v101, v70
	v_sub_f32_e32 v70, v72, v70
	v_mov_b32_e32 v72, v81
	v_add_f32_e32 v101, v3, v78
	v_sub_f32_e32 v73, v76, v80
	v_fmac_f32_e32 v72, 0x3f737871, v92
	v_fmac_f32_e32 v81, 0xbf737871, v92
	v_add_f32_e32 v101, v101, v75
	v_add_f32_e32 v70, v73, v70
	v_fmac_f32_e32 v72, 0xbf167918, v91
	v_fmac_f32_e32 v81, 0x3f167918, v91
	v_add_f32_e32 v101, v101, v71
	v_fmac_f32_e32 v72, 0x3e9e377a, v70
	v_fmac_f32_e32 v81, 0x3e9e377a, v70
	v_add_f32_e32 v70, v78, v69
	v_add_f32_e32 v116, v101, v69
	v_fmac_f32_e32 v3, -0.5, v70
	v_sub_f32_e32 v70, v75, v78
	v_sub_f32_e32 v69, v71, v69
	v_add_f32_e32 v69, v70, v69
	v_mov_b32_e32 v70, v3
	v_fmac_f32_e32 v70, 0xbf737871, v94
	v_fmac_f32_e32 v3, 0x3f737871, v94
	;; [unrolled: 1-line block ×6, first 2 shown]
	v_mul_f32_e32 v73, 0xbf737871, v70
	v_mul_f32_e32 v75, 0x3e9e377a, v70
	v_mul_f32_e32 v76, 0xbf737871, v3
	v_mul_f32_e32 v78, 0xbe9e377a, v3
	v_fmac_f32_e32 v90, 0xbf737871, v93
	v_fmac_f32_e32 v73, 0x3e9e377a, v72
	;; [unrolled: 1-line block ×7, first 2 shown]
	v_mov_b32_e32 v108, v106
	v_mov_b32_e32 v113, v111
	v_add_f32_e32 v69, v83, v73
	v_add_f32_e32 v70, v77, v75
	v_add_f32_e32 v71, v79, v76
	v_add_f32_e32 v72, v74, v78
	v_fmac_f32_e32 v106, 0x3f737871, v107
	v_fmac_f32_e32 v111, 0xbf737871, v112
	;; [unrolled: 1-line block ×6, first 2 shown]
	s_barrier
	ds_write2_b64 v58, v[69:70], v[71:72] offset0:6 offset1:9
	v_fmac_f32_e32 v106, 0x3f167918, v109
	v_fmac_f32_e32 v111, 0xbf167918, v114
	v_fmac_f32_e32 v88, 0x3e9e377a, v87
	v_mul_f32_e32 v71, 0xbf167918, v90
	v_mul_f32_e32 v72, 0xbf4f1bbd, v90
	v_fmac_f32_e32 v108, 0xbf167918, v109
	v_fmac_f32_e32 v113, 0x3f167918, v114
	;; [unrolled: 1-line block ×8, first 2 shown]
	v_sub_f32_e32 v69, v105, v115
	v_sub_f32_e32 v70, v110, v116
	v_add_f32_e32 v2, v106, v71
	v_add_f32_e32 v3, v111, v72
	ds_write2_b64 v58, v[2:3], v[69:70] offset0:12 offset1:15
	v_sub_f32_e32 v2, v108, v95
	v_sub_f32_e32 v3, v113, v96
	;; [unrolled: 1-line block ×4, first 2 shown]
	ds_write2_b64 v58, v[2:3], v[69:70] offset0:18 offset1:21
	v_sub_f32_e32 v2, v79, v76
	v_sub_f32_e32 v3, v74, v78
	;; [unrolled: 1-line block ×4, first 2 shown]
	v_add_f32_e32 v101, v105, v115
	v_add_f32_e32 v102, v110, v116
	;; [unrolled: 1-line block ×4, first 2 shown]
	ds_write2_b64 v58, v[2:3], v[69:70] offset0:24 offset1:27
	v_sub_f32_e32 v2, v68, v66
	v_sub_f32_e32 v3, v56, v63
	ds_write2_b64 v58, v[101:102], v[103:104] offset1:3
	v_add_f32_e32 v58, v2, v3
	v_sub_f32_e32 v2, v67, v65
	v_sub_f32_e32 v3, v54, v60
	v_add_f32_e32 v69, v2, v3
	v_sub_f32_e32 v2, v62, v57
	v_sub_f32_e32 v3, v41, v53
	;; [unrolled: 3-line block ×3, first 2 shown]
	v_add_f32_e32 v71, v2, v3
	v_add_f32_e32 v3, v55, v52
	;; [unrolled: 1-line block ×3, first 2 shown]
	v_fma_f32 v75, -0.5, v3, v64
	v_fma_f32 v72, -0.5, v2, v61
	v_sub_f32_e32 v76, v62, v41
	v_mov_b32_e32 v3, v75
	v_sub_f32_e32 v73, v59, v51
	v_mov_b32_e32 v2, v72
	v_fmac_f32_e32 v3, 0x3f737871, v76
	v_sub_f32_e32 v77, v57, v53
	v_fmac_f32_e32 v2, 0xbf737871, v73
	v_sub_f32_e32 v74, v55, v52
	v_fmac_f32_e32 v3, 0x3f167918, v77
	v_fmac_f32_e32 v2, 0xbf167918, v74
	;; [unrolled: 1-line block ×4, first 2 shown]
	v_mul_f32_e32 v78, 0xbf167918, v3
	v_mul_f32_e32 v79, 0x3f4f1bbd, v3
	v_fmac_f32_e32 v78, 0x3f4f1bbd, v2
	v_fmac_f32_e32 v79, 0x3f167918, v2
	v_mul_u32_u24_e32 v2, 0xf0, v30
	v_lshlrev_b32_sdwa v3, v11, v31 dst_sel:DWORD dst_unused:UNUSED_PAD src0_sel:DWORD src1_sel:BYTE_0
	v_add3_u32 v80, 0, v2, v3
	v_add_f32_e32 v2, v99, v68
	v_add_f32_e32 v2, v2, v66
	;; [unrolled: 1-line block ×5, first 2 shown]
	v_fma_f32 v82, -0.5, v2, v99
	v_add_f32_e32 v2, v100, v67
	v_add_f32_e32 v2, v2, v65
	;; [unrolled: 1-line block ×5, first 2 shown]
	v_fma_f32 v87, -0.5, v2, v100
	v_add_f32_e32 v2, v61, v62
	v_add_f32_e32 v2, v2, v57
	v_add_f32_e32 v2, v2, v53
	v_sub_f32_e32 v83, v67, v54
	v_mov_b32_e32 v84, v82
	v_sub_f32_e32 v88, v68, v56
	v_mov_b32_e32 v89, v87
	v_add_f32_e32 v91, v2, v41
	v_add_f32_e32 v2, v64, v59
	v_fmac_f32_e32 v84, 0xbf737871, v83
	v_sub_f32_e32 v85, v65, v60
	v_fmac_f32_e32 v89, 0x3f737871, v88
	v_sub_f32_e32 v90, v66, v63
	v_add_f32_e32 v2, v2, v55
	v_fmac_f32_e32 v84, 0xbf167918, v85
	v_fmac_f32_e32 v89, 0x3f167918, v90
	v_add_f32_e32 v2, v2, v52
	v_fmac_f32_e32 v84, 0x3e9e377a, v58
	v_fmac_f32_e32 v89, 0x3e9e377a, v69
	v_add_f32_e32 v92, v2, v51
	v_add_f32_e32 v2, v81, v91
	;; [unrolled: 1-line block ×5, first 2 shown]
	ds_write2_b64 v80, v[2:3], v[30:31] offset1:3
	v_add_f32_e32 v3, v68, v56
	v_sub_f32_e32 v30, v63, v56
	v_fma_f32 v56, -0.5, v3, v99
	v_mov_b32_e32 v63, v56
	v_sub_f32_e32 v2, v66, v68
	v_fmac_f32_e32 v63, 0x3f737871, v85
	v_fmac_f32_e32 v56, 0xbf737871, v85
	v_add_f32_e32 v2, v2, v30
	v_fmac_f32_e32 v63, 0xbf167918, v83
	v_fmac_f32_e32 v56, 0x3f167918, v83
	;; [unrolled: 1-line block ×4, first 2 shown]
	v_add_f32_e32 v2, v67, v54
	v_fmac_f32_e32 v100, -0.5, v2
	v_sub_f32_e32 v3, v60, v54
	v_mov_b32_e32 v54, v100
	v_sub_f32_e32 v2, v65, v67
	v_fmac_f32_e32 v54, 0xbf737871, v90
	v_fmac_f32_e32 v100, 0x3f737871, v90
	v_add_f32_e32 v2, v2, v3
	v_fmac_f32_e32 v54, 0x3f167918, v88
	v_fmac_f32_e32 v100, 0xbf167918, v88
	;; [unrolled: 1-line block ×4, first 2 shown]
	v_add_f32_e32 v2, v62, v41
	v_fmac_f32_e32 v61, -0.5, v2
	v_sub_f32_e32 v2, v57, v62
	v_sub_f32_e32 v3, v53, v41
	v_add_f32_e32 v2, v2, v3
	v_mov_b32_e32 v3, v61
	v_fmac_f32_e32 v3, 0x3f737871, v74
	v_fmac_f32_e32 v61, 0xbf737871, v74
	;; [unrolled: 1-line block ×6, first 2 shown]
	v_add_f32_e32 v2, v59, v51
	v_fmac_f32_e32 v64, -0.5, v2
	v_sub_f32_e32 v2, v55, v59
	v_sub_f32_e32 v30, v52, v51
	v_add_f32_e32 v2, v2, v30
	v_mov_b32_e32 v30, v64
	v_fmac_f32_e32 v30, 0xbf737871, v77
	v_fmac_f32_e32 v64, 0x3f737871, v77
	v_fmac_f32_e32 v30, 0x3f167918, v76
	v_fmac_f32_e32 v64, 0xbf167918, v76
	v_fmac_f32_e32 v75, 0xbf737871, v76
	v_fmac_f32_e32 v30, 0x3e9e377a, v2
	v_fmac_f32_e32 v64, 0x3e9e377a, v2
	v_fmac_f32_e32 v72, 0x3f737871, v73
	v_fmac_f32_e32 v75, 0xbf167918, v77
	v_mul_f32_e32 v41, 0xbf737871, v30
	v_mul_f32_e32 v51, 0x3e9e377a, v30
	;; [unrolled: 1-line block ×4, first 2 shown]
	v_fmac_f32_e32 v82, 0x3f737871, v83
	v_fmac_f32_e32 v87, 0xbf737871, v88
	;; [unrolled: 1-line block ×11, first 2 shown]
	v_mul_f32_e32 v55, 0xbf167918, v75
	v_mul_f32_e32 v57, 0xbf4f1bbd, v75
	v_add_f32_e32 v2, v63, v41
	v_add_f32_e32 v3, v54, v51
	v_add_f32_e32 v30, v56, v52
	v_add_f32_e32 v31, v100, v53
	v_fmac_f32_e32 v82, 0x3e9e377a, v58
	v_fmac_f32_e32 v87, 0x3e9e377a, v69
	;; [unrolled: 1-line block ×4, first 2 shown]
	ds_write2_b64 v80, v[2:3], v[30:31] offset0:6 offset1:9
	v_sub_f32_e32 v2, v81, v91
	v_sub_f32_e32 v3, v86, v92
	v_add_f32_e32 v30, v82, v55
	v_add_f32_e32 v31, v87, v57
	ds_write2_b64 v80, v[30:31], v[2:3] offset0:12 offset1:15
	v_sub_f32_e32 v2, v84, v78
	v_sub_f32_e32 v3, v89, v79
	;; [unrolled: 1-line block ×4, first 2 shown]
	ds_write2_b64 v80, v[2:3], v[30:31] offset0:18 offset1:21
	v_sub_f32_e32 v3, v100, v53
	v_sub_f32_e32 v2, v56, v52
	;; [unrolled: 1-line block ×4, first 2 shown]
	ds_write2_b64 v80, v[2:3], v[30:31] offset0:24 offset1:27
	v_sub_f32_e32 v2, v50, v48
	v_sub_f32_e32 v3, v37, v43
	v_add_f32_e32 v30, v2, v3
	v_sub_f32_e32 v2, v49, v47
	v_sub_f32_e32 v3, v36, v40
	v_add_f32_e32 v31, v2, v3
	;; [unrolled: 3-line block ×4, first 2 shown]
	v_add_f32_e32 v3, v38, v34
	v_add_f32_e32 v2, v39, v35
	v_fma_f32 v55, -0.5, v3, v46
	v_fma_f32 v52, -0.5, v2, v44
	v_sub_f32_e32 v56, v45, v33
	v_mov_b32_e32 v3, v55
	v_sub_f32_e32 v53, v42, v32
	v_mov_b32_e32 v2, v52
	v_fmac_f32_e32 v3, 0x3f737871, v56
	v_sub_f32_e32 v57, v39, v35
	v_fmac_f32_e32 v2, 0xbf737871, v53
	v_sub_f32_e32 v54, v38, v34
	v_fmac_f32_e32 v3, 0x3f167918, v57
	v_fmac_f32_e32 v2, 0xbf167918, v54
	;; [unrolled: 1-line block ×4, first 2 shown]
	v_mul_f32_e32 v58, 0xbf167918, v3
	v_mul_f32_e32 v59, 0x3f4f1bbd, v3
	v_fmac_f32_e32 v58, 0x3f4f1bbd, v2
	v_fmac_f32_e32 v59, 0x3f167918, v2
	v_mul_u32_u24_e32 v2, 0xf0, v28
	v_lshlrev_b32_e32 v3, 3, v29
	v_add3_u32 v60, 0, v2, v3
	v_add_f32_e32 v2, v0, v50
	v_add_f32_e32 v2, v2, v48
	;; [unrolled: 1-line block ×5, first 2 shown]
	v_fma_f32 v62, -0.5, v2, v0
	v_add_f32_e32 v2, v1, v49
	v_add_f32_e32 v2, v2, v47
	;; [unrolled: 1-line block ×5, first 2 shown]
	v_fma_f32 v67, -0.5, v2, v1
	v_add_f32_e32 v2, v44, v45
	v_add_f32_e32 v2, v2, v39
	;; [unrolled: 1-line block ×3, first 2 shown]
	v_sub_f32_e32 v63, v49, v36
	v_mov_b32_e32 v64, v62
	v_sub_f32_e32 v68, v50, v37
	v_mov_b32_e32 v69, v67
	v_add_f32_e32 v71, v2, v33
	v_add_f32_e32 v2, v46, v42
	v_fmac_f32_e32 v64, 0xbf737871, v63
	v_sub_f32_e32 v65, v47, v40
	v_fmac_f32_e32 v69, 0x3f737871, v68
	v_sub_f32_e32 v70, v48, v43
	v_add_f32_e32 v2, v2, v38
	v_fmac_f32_e32 v64, 0xbf167918, v65
	v_fmac_f32_e32 v69, 0x3f167918, v70
	v_add_f32_e32 v2, v2, v34
	v_fmac_f32_e32 v64, 0x3e9e377a, v30
	v_fmac_f32_e32 v69, 0x3e9e377a, v31
	v_add_f32_e32 v72, v2, v32
	v_add_f32_e32 v2, v61, v71
	;; [unrolled: 1-line block ×5, first 2 shown]
	ds_write2_b64 v60, v[2:3], v[28:29] offset1:3
	v_add_f32_e32 v3, v50, v37
	v_fma_f32 v0, -0.5, v3, v0
	v_sub_f32_e32 v28, v43, v37
	v_mov_b32_e32 v37, v0
	v_sub_f32_e32 v2, v48, v50
	v_fmac_f32_e32 v37, 0x3f737871, v65
	v_fmac_f32_e32 v0, 0xbf737871, v65
	v_add_f32_e32 v2, v2, v28
	v_fmac_f32_e32 v37, 0xbf167918, v63
	v_fmac_f32_e32 v0, 0x3f167918, v63
	;; [unrolled: 1-line block ×4, first 2 shown]
	v_add_f32_e32 v2, v49, v36
	v_fmac_f32_e32 v1, -0.5, v2
	v_sub_f32_e32 v3, v40, v36
	v_mov_b32_e32 v36, v1
	v_sub_f32_e32 v2, v47, v49
	v_fmac_f32_e32 v36, 0xbf737871, v70
	v_fmac_f32_e32 v1, 0x3f737871, v70
	v_add_f32_e32 v2, v2, v3
	v_fmac_f32_e32 v36, 0x3f167918, v68
	v_fmac_f32_e32 v1, 0xbf167918, v68
	;; [unrolled: 1-line block ×4, first 2 shown]
	v_add_f32_e32 v2, v45, v33
	v_fmac_f32_e32 v44, -0.5, v2
	v_sub_f32_e32 v2, v39, v45
	v_sub_f32_e32 v3, v35, v33
	v_add_f32_e32 v2, v2, v3
	v_mov_b32_e32 v3, v44
	v_fmac_f32_e32 v3, 0x3f737871, v54
	v_fmac_f32_e32 v44, 0xbf737871, v54
	;; [unrolled: 1-line block ×6, first 2 shown]
	v_add_f32_e32 v2, v42, v32
	v_fmac_f32_e32 v46, -0.5, v2
	v_sub_f32_e32 v2, v38, v42
	v_sub_f32_e32 v28, v34, v32
	v_add_f32_e32 v2, v2, v28
	v_mov_b32_e32 v28, v46
	v_fmac_f32_e32 v28, 0xbf737871, v57
	v_fmac_f32_e32 v46, 0x3f737871, v57
	;; [unrolled: 1-line block ×11, first 2 shown]
	v_mul_f32_e32 v32, 0xbf737871, v28
	v_mul_f32_e32 v33, 0x3e9e377a, v28
	;; [unrolled: 1-line block ×4, first 2 shown]
	v_fmac_f32_e32 v62, 0x3f167918, v65
	v_fmac_f32_e32 v67, 0xbf167918, v70
	;; [unrolled: 1-line block ×11, first 2 shown]
	v_mul_f32_e32 v30, 0xbf167918, v55
	v_mul_f32_e32 v31, 0xbf4f1bbd, v55
	v_add_f32_e32 v2, v37, v32
	v_add_f32_e32 v3, v36, v33
	;; [unrolled: 1-line block ×4, first 2 shown]
	v_fmac_f32_e32 v30, 0xbf4f1bbd, v52
	v_fmac_f32_e32 v31, 0x3f167918, v52
	ds_write2_b64 v60, v[2:3], v[28:29] offset0:6 offset1:9
	v_sub_f32_e32 v2, v61, v71
	v_sub_f32_e32 v3, v66, v72
	v_add_f32_e32 v28, v62, v30
	v_add_f32_e32 v29, v67, v31
	ds_write2_b64 v60, v[28:29], v[2:3] offset0:12 offset1:15
	v_sub_f32_e32 v2, v64, v58
	v_sub_f32_e32 v3, v69, v59
	;; [unrolled: 1-line block ×4, first 2 shown]
	ds_write2_b64 v60, v[2:3], v[28:29] offset0:18 offset1:21
	v_sub_f32_e32 v1, v1, v35
	v_sub_f32_e32 v0, v0, v34
	;; [unrolled: 1-line block ×4, first 2 shown]
	ds_write2_b64 v60, v[0:1], v[2:3] offset0:24 offset1:27
	v_mul_lo_u16_sdwa v0, v10, s5 dst_sel:DWORD dst_unused:UNUSED_PAD src0_sel:BYTE_0 src1_sel:DWORD
	v_lshrrev_b16_e32 v30, 12, v0
	v_mul_lo_u16_e32 v0, 30, v30
	v_sub_u16_e32 v31, v10, v0
	v_mul_u32_u24_sdwa v0, v31, v13 dst_sel:DWORD dst_unused:UNUSED_PAD src0_sel:BYTE_0 src1_sel:DWORD
	v_lshlrev_b32_e32 v49, 3, v0
	v_mul_u32_u24_sdwa v0, v12, s6 dst_sel:DWORD dst_unused:UNUSED_PAD src0_sel:WORD_0 src1_sel:DWORD
	v_lshrrev_b32_e32 v28, 20, v0
	v_mul_lo_u16_e32 v0, 30, v28
	s_waitcnt lgkmcnt(0)
	s_barrier
	global_load_dwordx2 v[36:37], v49, s[12:13] offset:280
	v_sub_u16_e32 v29, v12, v0
	v_mul_u32_u24_e32 v0, 9, v29
	v_lshlrev_b32_e32 v67, 3, v0
	global_load_dwordx2 v[38:39], v67, s[12:13] offset:280
	v_mul_lo_u16_sdwa v0, v6, s5 dst_sel:DWORD dst_unused:UNUSED_PAD src0_sel:BYTE_0 src1_sel:DWORD
	v_lshrrev_b16_e32 v57, 12, v0
	v_mul_lo_u16_e32 v0, 30, v57
	v_sub_u16_e32 v58, v6, v0
	v_mul_u32_u24_sdwa v0, v58, v13 dst_sel:DWORD dst_unused:UNUSED_PAD src0_sel:BYTE_0 src1_sel:DWORD
	v_lshlrev_b32_e32 v68, 3, v0
	global_load_dwordx2 v[55:56], v68, s[12:13] offset:280
	global_load_dwordx4 v[0:3], v67, s[12:13] offset:264
	global_load_dwordx4 v[41:44], v49, s[12:13] offset:264
	;; [unrolled: 1-line block ×7, first 2 shown]
	ds_read2_b64 v[32:35], v7 offset0:88 offset1:178
	global_load_dwordx4 v[88:91], v49, s[12:13] offset:232
	ds_read2_b64 v[51:54], v17 offset0:36 offset1:126
	global_load_dwordx4 v[92:95], v68, s[12:13] offset:232
	global_load_dwordx4 v[96:99], v49, s[12:13] offset:216
	;; [unrolled: 1-line block ×4, first 2 shown]
	ds_read2_b64 v[75:78], v20 offset0:8 offset1:98
	v_mul_u32_u24_e32 v57, 0x960, v57
	v_lshlrev_b32_sdwa v58, v11, v58 dst_sel:DWORD dst_unused:UNUSED_PAD src0_sel:DWORD src1_sel:BYTE_0
	v_lshlrev_b32_e32 v10, 1, v10
	v_lshlrev_b32_e32 v12, 1, v12
	s_waitcnt vmcnt(14) lgkmcnt(2)
	v_mul_f32_e32 v13, v32, v37
	v_mul_f32_e32 v40, v33, v37
	v_fma_f32 v50, v33, v36, -v13
	v_fmac_f32_e32 v40, v32, v36
	s_waitcnt vmcnt(12) lgkmcnt(1)
	v_mul_f32_e32 v70, v54, v56
	v_mul_f32_e32 v33, v53, v56
	v_fmac_f32_e32 v70, v53, v55
	v_fma_f32 v69, v54, v55, -v33
	ds_read2_b64 v[53:56], v26 offset0:60 offset1:150
	v_mul_f32_e32 v32, v35, v39
	v_fmac_f32_e32 v32, v34, v38
	v_mul_f32_e32 v13, v34, v39
	s_waitcnt vmcnt(11)
	v_mul_f32_e32 v36, v52, v3
	v_mul_f32_e32 v3, v51, v3
	s_waitcnt lgkmcnt(0)
	v_mul_f32_e32 v34, v56, v1
	v_mul_f32_e32 v1, v55, v1
	v_fma_f32 v13, v35, v38, -v13
	v_fmac_f32_e32 v36, v51, v2
	v_fma_f32 v35, v52, v2, -v3
	v_fmac_f32_e32 v34, v55, v0
	v_fma_f32 v33, v56, v0, -v1
	ds_read2_b64 v[0:3], v27 offset0:112 offset1:202
	s_waitcnt vmcnt(10)
	v_mul_f32_e32 v52, v54, v42
	v_fmac_f32_e32 v52, v53, v41
	v_mul_f32_e32 v37, v53, v42
	s_waitcnt vmcnt(9)
	v_mul_f32_e32 v72, v78, v46
	s_waitcnt lgkmcnt(0)
	v_mul_f32_e32 v73, v1, v48
	v_mul_f32_e32 v55, v3, v44
	v_fmac_f32_e32 v73, v0, v47
	v_mul_f32_e32 v0, v0, v48
	v_fmac_f32_e32 v55, v2, v43
	v_mul_f32_e32 v2, v2, v44
	v_fma_f32 v74, v1, v47, -v0
	v_mul_f32_e32 v0, v77, v46
	v_fma_f32 v53, v3, v43, -v2
	v_fma_f32 v71, v78, v45, -v0
	ds_read2_b64 v[0:3], v19 offset0:160 offset1:250
	v_fmac_f32_e32 v72, v77, v45
	ds_read2_b64 v[43:46], v15 offset0:84 offset1:174
	v_fma_f32 v51, v54, v41, -v37
	s_waitcnt vmcnt(8)
	v_mul_f32_e32 v37, v75, v62
	s_waitcnt vmcnt(7) lgkmcnt(1)
	v_mul_f32_e32 v56, v1, v64
	v_mul_f32_e32 v38, v3, v60
	v_fmac_f32_e32 v56, v0, v63
	v_mul_f32_e32 v0, v0, v64
	v_fmac_f32_e32 v38, v2, v59
	v_mul_f32_e32 v2, v2, v60
	v_fma_f32 v54, v1, v63, -v0
	s_waitcnt lgkmcnt(0)
	v_mul_f32_e32 v0, v45, v66
	v_fma_f32 v39, v76, v61, -v37
	v_fma_f32 v37, v3, v59, -v2
	;; [unrolled: 1-line block ×3, first 2 shown]
	ds_read2_b64 v[0:3], v24 offset0:108 offset1:198
	v_mul_f32_e32 v63, v46, v66
	v_fmac_f32_e32 v63, v45, v65
	ds_read2_b64 v[64:67], v18 offset0:132 offset1:222
	v_mul_f32_e32 v42, v76, v62
	s_waitcnt vmcnt(5) lgkmcnt(1)
	v_mul_f32_e32 v47, v1, v87
	v_mul_f32_e32 v76, v3, v81
	v_fmac_f32_e32 v47, v0, v86
	v_mul_f32_e32 v0, v0, v87
	v_mul_f32_e32 v41, v43, v83
	v_fmac_f32_e32 v76, v2, v80
	v_mul_f32_e32 v2, v2, v81
	v_fma_f32 v46, v1, v86, -v0
	s_waitcnt lgkmcnt(0)
	v_mul_f32_e32 v0, v66, v85
	v_fmac_f32_e32 v42, v75, v61
	v_fma_f32 v77, v44, v82, -v41
	v_fma_f32 v75, v3, v80, -v2
	;; [unrolled: 1-line block ×3, first 2 shown]
	ds_read2_b64 v[0:3], v23 offset0:56 offset1:146
	v_mul_f32_e32 v79, v44, v83
	v_mul_f32_e32 v44, v67, v85
	v_fmac_f32_e32 v44, v66, v84
	ds_read2_b64 v[84:87], v16 offset0:80 offset1:170
	s_waitcnt vmcnt(3) lgkmcnt(1)
	v_mul_f32_e32 v83, v1, v95
	v_mul_f32_e32 v66, v3, v91
	v_fmac_f32_e32 v83, v0, v94
	v_mul_f32_e32 v0, v0, v95
	v_fmac_f32_e32 v79, v43, v82
	v_mul_f32_e32 v43, v64, v89
	v_fmac_f32_e32 v66, v2, v90
	v_mul_f32_e32 v2, v2, v91
	v_fma_f32 v82, v1, v94, -v0
	s_waitcnt lgkmcnt(0)
	v_mul_f32_e32 v0, v93, v86
	v_mul_f32_e32 v62, v65, v89
	v_fma_f32 v59, v65, v88, -v43
	v_fma_f32 v65, v3, v90, -v2
	;; [unrolled: 1-line block ×3, first 2 shown]
	ds_read2_b64 v[0:3], v25 offset0:104 offset1:194
	v_mul_f32_e32 v80, v93, v87
	s_waitcnt vmcnt(1)
	v_mul_f32_e32 v49, v85, v103
	v_mul_f32_e32 v43, v84, v103
	v_fmac_f32_e32 v80, v92, v86
	v_fmac_f32_e32 v49, v84, v102
	v_fma_f32 v48, v85, v102, -v43
	ds_read2_b64 v[84:87], v21 offset0:28 offset1:118
	s_waitcnt lgkmcnt(1)
	v_mul_f32_e32 v61, v1, v97
	v_mul_f32_e32 v43, v3, v101
	v_fmac_f32_e32 v61, v0, v96
	v_mul_f32_e32 v0, v0, v97
	v_fmac_f32_e32 v62, v64, v88
	v_fmac_f32_e32 v43, v2, v100
	v_mul_f32_e32 v2, v2, v101
	v_fma_f32 v64, v1, v96, -v0
	s_waitcnt lgkmcnt(0)
	v_mul_f32_e32 v68, v87, v99
	v_mul_f32_e32 v0, v86, v99
	v_fma_f32 v45, v3, v100, -v2
	v_fmac_f32_e32 v68, v86, v98
	v_fma_f32 v67, v87, v98, -v0
	ds_read2_b64 v[97:100], v14 offset1:90
	ds_read2_b64 v[0:3], v22 offset0:52 offset1:142
	s_waitcnt vmcnt(0)
	v_mul_f32_e32 v86, v107, v85
	v_fmac_f32_e32 v86, v106, v84
	v_mul_f32_e32 v81, v107, v84
	v_add3_u32 v103, 0, v57, v58
	s_waitcnt lgkmcnt(1)
	v_add_f32_e32 v57, v97, v86
	v_fma_f32 v84, v106, v85, -v81
	s_waitcnt lgkmcnt(0)
	v_mul_f32_e32 v81, v105, v3
	v_add_f32_e32 v57, v57, v83
	v_fmac_f32_e32 v81, v104, v2
	v_mul_f32_e32 v2, v105, v2
	v_add_f32_e32 v57, v57, v79
	v_fma_f32 v3, v104, v3, -v2
	v_add_f32_e32 v104, v57, v73
	v_add_f32_e32 v57, v83, v79
	v_sub_f32_e32 v2, v86, v83
	v_sub_f32_e32 v85, v73, v79
	v_fma_f32 v105, -0.5, v57, v97
	v_add_f32_e32 v57, v98, v84
	v_add_f32_e32 v2, v2, v85
	v_sub_f32_e32 v85, v84, v82
	v_sub_f32_e32 v87, v74, v77
	v_add_f32_e32 v57, v57, v82
	v_add_f32_e32 v85, v85, v87
	v_sub_f32_e32 v87, v80, v76
	v_sub_f32_e32 v88, v70, v72
	;; [unrolled: 4-line block ×3, first 2 shown]
	v_add_f32_e32 v90, v75, v71
	v_add_f32_e32 v109, v57, v74
	;; [unrolled: 1-line block ×5, first 2 shown]
	v_fma_f32 v90, -0.5, v90, v3
	v_fma_f32 v110, -0.5, v57, v98
	v_add_f32_e32 v57, v81, v80
	v_fma_f32 v88, -0.5, v88, v81
	v_sub_f32_e32 v93, v80, v70
	v_mov_b32_e32 v96, v90
	v_add_f32_e32 v57, v57, v76
	v_sub_f32_e32 v91, v78, v69
	v_mov_b32_e32 v101, v88
	v_fmac_f32_e32 v96, 0x3f737871, v93
	v_sub_f32_e32 v94, v76, v72
	v_add_f32_e32 v57, v57, v72
	v_fmac_f32_e32 v101, 0xbf737871, v91
	v_sub_f32_e32 v92, v75, v71
	v_fmac_f32_e32 v96, 0x3f167918, v94
	v_sub_f32_e32 v106, v84, v74
	v_mov_b32_e32 v107, v105
	v_sub_f32_e32 v111, v86, v73
	v_mov_b32_e32 v112, v110
	v_add_f32_e32 v114, v57, v70
	v_add_f32_e32 v57, v3, v78
	v_fmac_f32_e32 v101, 0xbf167918, v92
	v_fmac_f32_e32 v96, 0x3e9e377a, v89
	;; [unrolled: 1-line block ×3, first 2 shown]
	v_sub_f32_e32 v108, v82, v77
	v_fmac_f32_e32 v112, 0x3f737871, v111
	v_sub_f32_e32 v113, v83, v79
	v_add_f32_e32 v57, v57, v75
	v_fmac_f32_e32 v101, 0x3e9e377a, v87
	v_mul_f32_e32 v95, 0xbf167918, v96
	v_mul_f32_e32 v96, 0x3f4f1bbd, v96
	v_fmac_f32_e32 v107, 0xbf167918, v108
	v_fmac_f32_e32 v112, 0x3f167918, v113
	v_add_f32_e32 v57, v57, v71
	v_fmac_f32_e32 v95, 0x3f4f1bbd, v101
	v_fmac_f32_e32 v96, 0x3f167918, v101
	;; [unrolled: 1-line block ×4, first 2 shown]
	v_add_f32_e32 v115, v57, v69
	v_add_f32_e32 v57, v104, v114
	;; [unrolled: 1-line block ×5, first 2 shown]
	s_barrier
	ds_write2_b64 v103, v[57:58], v[101:102] offset1:30
	v_sub_f32_e32 v57, v83, v86
	v_add_f32_e32 v58, v86, v73
	v_sub_f32_e32 v73, v79, v73
	v_add_f32_e32 v57, v57, v73
	v_fma_f32 v73, -0.5, v58, v97
	v_mov_b32_e32 v79, v73
	v_fmac_f32_e32 v79, 0x3f737871, v108
	v_fmac_f32_e32 v73, 0xbf737871, v108
	;; [unrolled: 1-line block ×6, first 2 shown]
	v_sub_f32_e32 v57, v82, v84
	v_add_f32_e32 v58, v84, v74
	v_sub_f32_e32 v74, v77, v74
	v_add_f32_e32 v57, v57, v74
	v_fma_f32 v74, -0.5, v58, v98
	v_mov_b32_e32 v77, v74
	v_fmac_f32_e32 v77, 0xbf737871, v113
	v_fmac_f32_e32 v74, 0x3f737871, v113
	v_fmac_f32_e32 v77, 0x3f167918, v111
	v_fmac_f32_e32 v74, 0xbf167918, v111
	v_fmac_f32_e32 v77, 0x3e9e377a, v57
	v_fmac_f32_e32 v74, 0x3e9e377a, v57
	v_add_f32_e32 v57, v80, v70
	v_fmac_f32_e32 v81, -0.5, v57
	v_sub_f32_e32 v57, v76, v80
	v_sub_f32_e32 v58, v72, v70
	v_add_f32_e32 v57, v57, v58
	v_mov_b32_e32 v58, v81
	v_fmac_f32_e32 v58, 0x3f737871, v92
	v_fmac_f32_e32 v81, 0xbf737871, v92
	v_fmac_f32_e32 v58, 0xbf167918, v91
	v_fmac_f32_e32 v81, 0x3f167918, v91
	v_fmac_f32_e32 v58, 0x3e9e377a, v57
	v_fmac_f32_e32 v81, 0x3e9e377a, v57
	v_add_f32_e32 v57, v78, v69
	v_fmac_f32_e32 v3, -0.5, v57
	v_sub_f32_e32 v57, v75, v78
	v_sub_f32_e32 v69, v71, v69
	v_add_f32_e32 v57, v57, v69
	v_mov_b32_e32 v69, v3
	v_fmac_f32_e32 v69, 0xbf737871, v94
	v_fmac_f32_e32 v3, 0x3f737871, v94
	;; [unrolled: 1-line block ×6, first 2 shown]
	v_mul_f32_e32 v71, 0xbf737871, v69
	v_mul_f32_e32 v72, 0x3e9e377a, v69
	;; [unrolled: 1-line block ×4, first 2 shown]
	v_fmac_f32_e32 v90, 0xbf737871, v93
	v_fmac_f32_e32 v71, 0x3e9e377a, v58
	;; [unrolled: 1-line block ×7, first 2 shown]
	v_add_f32_e32 v57, v79, v71
	v_add_f32_e32 v58, v77, v72
	;; [unrolled: 1-line block ×4, first 2 shown]
	v_fmac_f32_e32 v105, 0x3f737871, v106
	v_fmac_f32_e32 v110, 0xbf737871, v111
	;; [unrolled: 1-line block ×4, first 2 shown]
	ds_write2_b64 v103, v[57:58], v[69:70] offset0:60 offset1:90
	v_fmac_f32_e32 v105, 0x3f167918, v108
	v_fmac_f32_e32 v110, 0xbf167918, v113
	;; [unrolled: 1-line block ×3, first 2 shown]
	v_mul_f32_e32 v69, 0xbf167918, v90
	v_mul_f32_e32 v70, 0xbf4f1bbd, v90
	v_fmac_f32_e32 v105, 0x3e9e377a, v2
	v_fmac_f32_e32 v110, 0x3e9e377a, v85
	;; [unrolled: 1-line block ×4, first 2 shown]
	v_sub_f32_e32 v57, v104, v114
	v_sub_f32_e32 v58, v109, v115
	v_add_f32_e32 v2, v105, v69
	v_add_f32_e32 v3, v110, v70
	ds_write2_b64 v103, v[2:3], v[57:58] offset0:120 offset1:150
	v_sub_f32_e32 v2, v107, v95
	v_sub_f32_e32 v3, v112, v96
	v_sub_f32_e32 v57, v79, v71
	v_sub_f32_e32 v58, v77, v72
	ds_write2_b64 v103, v[2:3], v[57:58] offset0:180 offset1:210
	v_sub_f32_e32 v2, v73, v75
	v_sub_f32_e32 v3, v74, v76
	;; [unrolled: 1-line block ×4, first 2 shown]
	v_add_u32_e32 v69, 0x400, v103
	ds_write2_b64 v69, v[2:3], v[57:58] offset0:112 offset1:142
	v_sub_f32_e32 v2, v68, v66
	v_sub_f32_e32 v3, v55, v63
	v_add_f32_e32 v57, v2, v3
	v_sub_f32_e32 v2, v67, v65
	v_sub_f32_e32 v3, v53, v60
	v_add_f32_e32 v58, v2, v3
	;; [unrolled: 3-line block ×4, first 2 shown]
	v_add_f32_e32 v3, v54, v51
	v_add_f32_e32 v2, v56, v52
	v_fma_f32 v74, -0.5, v3, v64
	v_fma_f32 v71, -0.5, v2, v61
	v_sub_f32_e32 v75, v62, v40
	v_mov_b32_e32 v3, v74
	v_sub_f32_e32 v72, v59, v50
	v_mov_b32_e32 v2, v71
	v_fmac_f32_e32 v3, 0x3f737871, v75
	v_sub_f32_e32 v76, v56, v52
	v_fmac_f32_e32 v2, 0xbf737871, v72
	v_sub_f32_e32 v73, v54, v51
	v_fmac_f32_e32 v3, 0x3f167918, v76
	v_fmac_f32_e32 v2, 0xbf167918, v73
	;; [unrolled: 1-line block ×4, first 2 shown]
	v_mul_f32_e32 v77, 0xbf167918, v3
	v_mul_f32_e32 v78, 0x3f4f1bbd, v3
	v_fmac_f32_e32 v77, 0x3f4f1bbd, v2
	v_fmac_f32_e32 v78, 0x3f167918, v2
	v_lshlrev_b32_sdwa v2, v11, v31 dst_sel:DWORD dst_unused:UNUSED_PAD src0_sel:DWORD src1_sel:BYTE_0
	v_mul_u32_u24_e32 v3, 0x960, v30
	v_add3_u32 v11, 0, v3, v2
	v_add_f32_e32 v2, v99, v68
	v_add_f32_e32 v2, v2, v66
	;; [unrolled: 1-line block ×5, first 2 shown]
	v_fma_f32 v80, -0.5, v2, v99
	v_add_f32_e32 v2, v100, v67
	v_add_f32_e32 v2, v2, v65
	;; [unrolled: 1-line block ×5, first 2 shown]
	v_fma_f32 v85, -0.5, v2, v100
	v_add_f32_e32 v2, v61, v62
	v_add_f32_e32 v2, v2, v56
	;; [unrolled: 1-line block ×3, first 2 shown]
	v_sub_f32_e32 v81, v67, v53
	v_mov_b32_e32 v82, v80
	v_sub_f32_e32 v86, v68, v55
	v_mov_b32_e32 v87, v85
	v_add_f32_e32 v89, v2, v40
	v_add_f32_e32 v2, v64, v59
	v_fmac_f32_e32 v82, 0xbf737871, v81
	v_sub_f32_e32 v83, v65, v60
	v_fmac_f32_e32 v87, 0x3f737871, v86
	v_sub_f32_e32 v88, v66, v63
	v_add_f32_e32 v2, v2, v54
	v_fmac_f32_e32 v82, 0xbf167918, v83
	v_fmac_f32_e32 v87, 0x3f167918, v88
	v_add_f32_e32 v2, v2, v51
	v_fmac_f32_e32 v82, 0x3e9e377a, v57
	v_fmac_f32_e32 v87, 0x3e9e377a, v58
	v_add_f32_e32 v90, v2, v50
	v_add_f32_e32 v2, v79, v89
	;; [unrolled: 1-line block ×5, first 2 shown]
	ds_write2_b64 v11, v[2:3], v[30:31] offset1:30
	v_add_f32_e32 v3, v68, v55
	v_sub_f32_e32 v30, v63, v55
	v_fma_f32 v55, -0.5, v3, v99
	v_mov_b32_e32 v63, v55
	v_sub_f32_e32 v2, v66, v68
	v_fmac_f32_e32 v63, 0x3f737871, v83
	v_fmac_f32_e32 v55, 0xbf737871, v83
	v_add_f32_e32 v2, v2, v30
	v_fmac_f32_e32 v63, 0xbf167918, v81
	v_fmac_f32_e32 v55, 0x3f167918, v81
	;; [unrolled: 1-line block ×4, first 2 shown]
	v_add_f32_e32 v2, v67, v53
	v_fmac_f32_e32 v100, -0.5, v2
	v_sub_f32_e32 v3, v60, v53
	v_mov_b32_e32 v53, v100
	v_sub_f32_e32 v2, v65, v67
	v_fmac_f32_e32 v53, 0xbf737871, v88
	v_fmac_f32_e32 v100, 0x3f737871, v88
	v_add_f32_e32 v2, v2, v3
	v_fmac_f32_e32 v53, 0x3f167918, v86
	v_fmac_f32_e32 v100, 0xbf167918, v86
	;; [unrolled: 1-line block ×4, first 2 shown]
	v_add_f32_e32 v2, v62, v40
	v_fmac_f32_e32 v61, -0.5, v2
	v_sub_f32_e32 v2, v56, v62
	v_sub_f32_e32 v3, v52, v40
	v_add_f32_e32 v2, v2, v3
	v_mov_b32_e32 v3, v61
	v_fmac_f32_e32 v3, 0x3f737871, v73
	v_fmac_f32_e32 v61, 0xbf737871, v73
	;; [unrolled: 1-line block ×6, first 2 shown]
	v_add_f32_e32 v2, v59, v50
	v_fmac_f32_e32 v64, -0.5, v2
	v_sub_f32_e32 v2, v54, v59
	v_sub_f32_e32 v30, v51, v50
	v_add_f32_e32 v2, v2, v30
	v_mov_b32_e32 v30, v64
	v_fmac_f32_e32 v30, 0xbf737871, v76
	v_fmac_f32_e32 v64, 0x3f737871, v76
	;; [unrolled: 1-line block ×9, first 2 shown]
	v_mul_f32_e32 v40, 0xbf737871, v30
	v_mul_f32_e32 v50, 0x3e9e377a, v30
	;; [unrolled: 1-line block ×4, first 2 shown]
	v_fmac_f32_e32 v80, 0x3f737871, v81
	v_fmac_f32_e32 v85, 0xbf737871, v86
	;; [unrolled: 1-line block ×11, first 2 shown]
	v_mul_f32_e32 v54, 0xbf167918, v74
	v_mul_f32_e32 v56, 0xbf4f1bbd, v74
	v_add_f32_e32 v2, v63, v40
	v_add_f32_e32 v3, v53, v50
	;; [unrolled: 1-line block ×4, first 2 shown]
	v_fmac_f32_e32 v80, 0x3e9e377a, v57
	v_fmac_f32_e32 v85, 0x3e9e377a, v58
	;; [unrolled: 1-line block ×4, first 2 shown]
	ds_write2_b64 v11, v[2:3], v[30:31] offset0:60 offset1:90
	v_sub_f32_e32 v2, v79, v89
	v_sub_f32_e32 v3, v84, v90
	v_add_f32_e32 v30, v80, v54
	v_add_f32_e32 v31, v85, v56
	ds_write2_b64 v11, v[30:31], v[2:3] offset0:120 offset1:150
	v_sub_f32_e32 v2, v82, v77
	v_sub_f32_e32 v3, v87, v78
	;; [unrolled: 1-line block ×4, first 2 shown]
	ds_write2_b64 v11, v[2:3], v[30:31] offset0:180 offset1:210
	v_sub_f32_e32 v3, v100, v52
	v_sub_f32_e32 v2, v55, v51
	;; [unrolled: 1-line block ×4, first 2 shown]
	v_add_u32_e32 v11, 0x400, v11
	ds_write2_b64 v11, v[2:3], v[30:31] offset0:112 offset1:142
	v_sub_f32_e32 v2, v49, v47
	v_sub_f32_e32 v3, v36, v42
	v_add_f32_e32 v11, v2, v3
	v_sub_f32_e32 v2, v48, v46
	v_sub_f32_e32 v3, v35, v39
	v_add_f32_e32 v30, v2, v3
	;; [unrolled: 3-line block ×4, first 2 shown]
	v_add_f32_e32 v3, v37, v33
	v_add_f32_e32 v2, v38, v34
	v_fma_f32 v53, -0.5, v3, v45
	v_fma_f32 v50, -0.5, v2, v43
	v_sub_f32_e32 v54, v44, v32
	v_mov_b32_e32 v3, v53
	v_sub_f32_e32 v51, v41, v13
	v_mov_b32_e32 v2, v50
	v_fmac_f32_e32 v3, 0x3f737871, v54
	v_sub_f32_e32 v55, v38, v34
	v_fmac_f32_e32 v2, 0xbf737871, v51
	v_sub_f32_e32 v52, v37, v33
	v_fmac_f32_e32 v3, 0x3f167918, v55
	v_fmac_f32_e32 v2, 0xbf167918, v52
	;; [unrolled: 1-line block ×4, first 2 shown]
	v_mul_f32_e32 v56, 0xbf167918, v3
	v_mul_f32_e32 v57, 0x3f4f1bbd, v3
	v_fmac_f32_e32 v56, 0x3f4f1bbd, v2
	v_fmac_f32_e32 v57, 0x3f167918, v2
	v_mul_u32_u24_e32 v2, 0x960, v28
	v_lshlrev_b32_e32 v3, 3, v29
	v_add3_u32 v58, 0, v2, v3
	v_add_f32_e32 v2, v0, v49
	v_add_f32_e32 v2, v2, v47
	;; [unrolled: 1-line block ×5, first 2 shown]
	v_fma_f32 v60, -0.5, v2, v0
	v_add_f32_e32 v2, v1, v48
	v_add_f32_e32 v2, v2, v46
	;; [unrolled: 1-line block ×5, first 2 shown]
	v_fma_f32 v65, -0.5, v2, v1
	v_add_f32_e32 v2, v43, v44
	v_add_f32_e32 v2, v2, v38
	;; [unrolled: 1-line block ×3, first 2 shown]
	v_sub_f32_e32 v61, v48, v35
	v_mov_b32_e32 v62, v60
	v_sub_f32_e32 v66, v49, v36
	v_mov_b32_e32 v67, v65
	v_add_f32_e32 v69, v2, v32
	v_add_f32_e32 v2, v45, v41
	v_fmac_f32_e32 v62, 0xbf737871, v61
	v_sub_f32_e32 v63, v46, v39
	v_fmac_f32_e32 v67, 0x3f737871, v66
	v_sub_f32_e32 v68, v47, v42
	v_add_f32_e32 v2, v2, v37
	v_fmac_f32_e32 v62, 0xbf167918, v63
	v_fmac_f32_e32 v67, 0x3f167918, v68
	v_add_f32_e32 v2, v2, v33
	v_fmac_f32_e32 v62, 0x3e9e377a, v11
	v_fmac_f32_e32 v67, 0x3e9e377a, v30
	v_add_f32_e32 v70, v2, v13
	v_add_f32_e32 v2, v59, v69
	;; [unrolled: 1-line block ×5, first 2 shown]
	ds_write2_b64 v58, v[2:3], v[28:29] offset1:30
	v_add_f32_e32 v3, v49, v36
	v_fma_f32 v0, -0.5, v3, v0
	v_sub_f32_e32 v28, v42, v36
	v_mov_b32_e32 v36, v0
	v_sub_f32_e32 v2, v47, v49
	v_fmac_f32_e32 v36, 0x3f737871, v63
	v_fmac_f32_e32 v0, 0xbf737871, v63
	v_add_f32_e32 v2, v2, v28
	v_fmac_f32_e32 v36, 0xbf167918, v61
	v_fmac_f32_e32 v0, 0x3f167918, v61
	;; [unrolled: 1-line block ×4, first 2 shown]
	v_add_f32_e32 v2, v48, v35
	v_fmac_f32_e32 v1, -0.5, v2
	v_sub_f32_e32 v3, v39, v35
	v_mov_b32_e32 v35, v1
	v_sub_f32_e32 v2, v46, v48
	v_fmac_f32_e32 v35, 0xbf737871, v68
	v_fmac_f32_e32 v1, 0x3f737871, v68
	v_add_f32_e32 v2, v2, v3
	v_fmac_f32_e32 v35, 0x3f167918, v66
	v_fmac_f32_e32 v1, 0xbf167918, v66
	;; [unrolled: 1-line block ×4, first 2 shown]
	v_add_f32_e32 v2, v44, v32
	v_fmac_f32_e32 v43, -0.5, v2
	v_sub_f32_e32 v2, v38, v44
	v_sub_f32_e32 v3, v34, v32
	v_add_f32_e32 v2, v2, v3
	v_mov_b32_e32 v3, v43
	v_fmac_f32_e32 v3, 0x3f737871, v52
	v_fmac_f32_e32 v43, 0xbf737871, v52
	;; [unrolled: 1-line block ×6, first 2 shown]
	v_add_f32_e32 v2, v41, v13
	v_fmac_f32_e32 v45, -0.5, v2
	v_sub_f32_e32 v2, v37, v41
	v_sub_f32_e32 v13, v33, v13
	v_add_f32_e32 v2, v2, v13
	v_mov_b32_e32 v13, v45
	v_fmac_f32_e32 v13, 0xbf737871, v55
	v_fmac_f32_e32 v45, 0x3f737871, v55
	;; [unrolled: 1-line block ×10, first 2 shown]
	v_mul_f32_e32 v32, 0xbf737871, v13
	v_mul_f32_e32 v13, 0x3e9e377a, v13
	;; [unrolled: 1-line block ×4, first 2 shown]
	v_fmac_f32_e32 v60, 0x3f167918, v63
	v_fmac_f32_e32 v65, 0xbf737871, v66
	v_fmac_f32_e32 v50, 0x3f167918, v52
	v_fmac_f32_e32 v53, 0x3e9e377a, v40
	v_fmac_f32_e32 v32, 0x3e9e377a, v3
	v_fmac_f32_e32 v13, 0x3f737871, v3
	v_fmac_f32_e32 v33, 0xbe9e377a, v43
	v_fmac_f32_e32 v34, 0x3f737871, v43
	v_fmac_f32_e32 v60, 0x3e9e377a, v11
	v_fmac_f32_e32 v65, 0xbf167918, v68
	v_fmac_f32_e32 v50, 0x3e9e377a, v31
	v_mul_f32_e32 v11, 0xbf167918, v53
	v_mul_f32_e32 v31, 0xbf4f1bbd, v53
	v_add_f32_e32 v2, v36, v32
	v_add_f32_e32 v3, v35, v13
	;; [unrolled: 1-line block ×4, first 2 shown]
	v_fmac_f32_e32 v65, 0x3e9e377a, v30
	v_fmac_f32_e32 v11, 0xbf4f1bbd, v50
	;; [unrolled: 1-line block ×3, first 2 shown]
	ds_write2_b64 v58, v[2:3], v[28:29] offset0:60 offset1:90
	v_sub_f32_e32 v2, v59, v69
	v_sub_f32_e32 v3, v64, v70
	v_add_f32_e32 v28, v60, v11
	v_add_f32_e32 v29, v65, v31
	ds_write2_b64 v58, v[28:29], v[2:3] offset0:120 offset1:150
	v_sub_f32_e32 v2, v62, v56
	v_sub_f32_e32 v3, v67, v57
	;; [unrolled: 1-line block ×8, first 2 shown]
	ds_write2_b64 v58, v[2:3], v[28:29] offset0:180 offset1:210
	v_add_u32_e32 v2, 0x400, v58
	ds_write2_b64 v2, v[0:1], v[30:31] offset0:112 offset1:142
	v_lshlrev_b32_e32 v0, 1, v6
	v_mov_b32_e32 v1, 0
	v_lshlrev_b64 v[2:3], 3, v[0:1]
	v_mov_b32_e32 v11, v1
	v_mov_b32_e32 v28, s13
	v_add_co_u32_e32 v2, vcc, s12, v2
	v_lshlrev_b64 v[10:11], 3, v[10:11]
	v_addc_co_u32_e32 v3, vcc, v28, v3, vcc
	v_mov_b32_e32 v13, v1
	v_add_co_u32_e32 v10, vcc, s12, v10
	v_lshlrev_b64 v[12:13], 3, v[12:13]
	v_addc_co_u32_e32 v11, vcc, v28, v11, vcc
	v_add_co_u32_e32 v12, vcc, s12, v12
	v_addc_co_u32_e32 v13, vcc, v28, v13, vcc
	v_add_u32_e32 v29, 0x10e, v6
	v_subrev_u32_e32 v30, 30, v6
	v_cmp_gt_u32_e32 vcc, 30, v6
	v_cndmask_b32_e32 v34, v30, v29, vcc
	v_lshlrev_b32_e32 v30, 1, v34
	v_mov_b32_e32 v31, v1
	v_lshlrev_b64 v[30:31], 3, v[30:31]
	s_waitcnt lgkmcnt(0)
	v_add_co_u32_e32 v30, vcc, s12, v30
	v_addc_co_u32_e32 v31, vcc, v28, v31, vcc
	s_barrier
	global_load_dwordx4 v[40:43], v[2:3], off offset:2376
	global_load_dwordx4 v[52:55], v[30:31], off offset:2376
	v_add_u32_e32 v30, 0x78, v0
	v_mov_b32_e32 v31, v1
	v_lshlrev_b64 v[30:31], 3, v[30:31]
	global_load_dwordx4 v[44:47], v[10:11], off offset:2376
	v_add_co_u32_e32 v30, vcc, s12, v30
	v_addc_co_u32_e32 v31, vcc, v28, v31, vcc
	global_load_dwordx4 v[56:59], v[30:31], off offset:2376
	v_add_u32_e32 v30, 0x12c, v0
	v_mov_b32_e32 v31, v1
	v_lshlrev_b64 v[30:31], 3, v[30:31]
	global_load_dwordx4 v[48:51], v[12:13], off offset:2376
	v_add_co_u32_e32 v30, vcc, s12, v30
	v_addc_co_u32_e32 v31, vcc, v28, v31, vcc
	global_load_dwordx4 v[60:63], v[30:31], off offset:2376
	v_add_u32_e32 v30, 0x21c, v6
	v_lshrrev_b16_e32 v31, 2, v30
	v_mul_u32_u24_e32 v31, 0x6d3b, v31
	v_lshrrev_b32_e32 v35, 21, v31
	v_mul_lo_u16_e32 v31, 0x12c, v35
	v_sub_u16_e32 v36, v30, v31
	v_lshlrev_b32_e32 v31, 4, v36
	global_load_dwordx4 v[68:71], v31, s[12:13] offset:2376
	v_add_u32_e32 v31, 0x276, v6
	v_lshrrev_b16_e32 v32, 2, v31
	v_mul_u32_u24_e32 v32, 0x6d3b, v32
	v_lshrrev_b32_e32 v32, 21, v32
	v_mul_lo_u16_e32 v32, 0x12c, v32
	v_sub_u16_e32 v37, v31, v32
	v_lshlrev_b32_e32 v32, 4, v37
	global_load_dwordx4 v[72:75], v32, s[12:13] offset:2376
	;; [unrolled: 8-line block ×4, first 2 shown]
	ds_read2_b64 v[64:67], v18 offset0:132 offset1:222
	ds_read2_b64 v[76:79], v20 offset0:8 offset1:98
	v_cmp_lt_u32_e32 vcc, 29, v6
	v_lshlrev_b32_e32 v34, 3, v34
	v_mul_u32_u24_e32 v35, 0x1c20, v35
	v_lshlrev_b32_e32 v36, 3, v36
	s_waitcnt vmcnt(9) lgkmcnt(1)
	v_mul_f32_e32 v88, v41, v65
	v_mul_f32_e32 v41, v41, v64
	v_fmac_f32_e32 v88, v40, v64
	v_fma_f32 v89, v40, v65, -v41
	s_waitcnt lgkmcnt(0)
	v_mul_f32_e32 v90, v43, v77
	v_mul_f32_e32 v40, v43, v76
	v_fmac_f32_e32 v90, v42, v76
	v_fma_f32 v76, v42, v77, -v40
	s_waitcnt vmcnt(7)
	v_mul_f32_e32 v40, v66, v45
	v_mul_f32_e32 v65, v67, v45
	v_fma_f32 v64, v67, v44, -v40
	ds_read2_b64 v[40:43], v23 offset0:56 offset1:146
	v_fmac_f32_e32 v65, v66, v44
	v_mul_f32_e32 v66, v79, v47
	v_mul_f32_e32 v44, v78, v47
	v_fmac_f32_e32 v66, v78, v46
	v_fma_f32 v67, v79, v46, -v44
	ds_read2_b64 v[44:47], v26 offset0:60 offset1:150
	s_waitcnt vmcnt(5) lgkmcnt(1)
	v_mul_f32_e32 v77, v41, v49
	v_fmac_f32_e32 v77, v40, v48
	v_mul_f32_e32 v40, v40, v49
	v_fma_f32 v78, v41, v48, -v40
	s_waitcnt lgkmcnt(0)
	v_mul_f32_e32 v40, v44, v51
	v_fma_f32 v91, v45, v50, -v40
	v_mul_f32_e32 v92, v43, v53
	v_mul_f32_e32 v40, v42, v53
	;; [unrolled: 1-line block ×3, first 2 shown]
	v_fmac_f32_e32 v92, v42, v52
	v_fma_f32 v93, v43, v52, -v40
	ds_read2_b64 v[40:43], v24 offset0:108 offset1:198
	v_fmac_f32_e32 v79, v44, v50
	v_mul_f32_e32 v94, v47, v55
	v_mul_f32_e32 v44, v46, v55
	v_fmac_f32_e32 v94, v46, v54
	v_fma_f32 v95, v47, v54, -v44
	ds_read2_b64 v[44:47], v27 offset0:112 offset1:202
	s_waitcnt lgkmcnt(1)
	v_mul_f32_e32 v96, v41, v57
	v_fmac_f32_e32 v96, v40, v56
	v_mul_f32_e32 v40, v40, v57
	v_fma_f32 v97, v41, v56, -v40
	s_waitcnt lgkmcnt(0)
	v_mul_f32_e32 v40, v44, v59
	v_fma_f32 v99, v45, v58, -v40
	s_waitcnt vmcnt(4)
	v_mul_f32_e32 v100, v43, v61
	v_mul_f32_e32 v40, v42, v61
	;; [unrolled: 1-line block ×3, first 2 shown]
	v_fmac_f32_e32 v100, v42, v60
	v_fma_f32 v101, v43, v60, -v40
	ds_read2_b64 v[40:43], v19 offset0:160 offset1:250
	v_fmac_f32_e32 v98, v44, v58
	v_mul_f32_e32 v102, v47, v63
	v_mul_f32_e32 v44, v46, v63
	v_fmac_f32_e32 v102, v46, v62
	v_fma_f32 v103, v47, v62, -v44
	ds_read2_b64 v[44:47], v17 offset0:36 offset1:126
	s_waitcnt vmcnt(3) lgkmcnt(1)
	v_mul_f32_e32 v104, v41, v69
	v_fmac_f32_e32 v104, v40, v68
	v_mul_f32_e32 v40, v40, v69
	v_fma_f32 v68, v41, v68, -v40
	s_waitcnt lgkmcnt(0)
	v_mul_f32_e32 v69, v45, v71
	v_mul_f32_e32 v40, v44, v71
	v_fmac_f32_e32 v69, v44, v70
	v_fma_f32 v70, v45, v70, -v40
	s_waitcnt vmcnt(2)
	v_mul_f32_e32 v71, v43, v73
	v_mul_f32_e32 v40, v42, v73
	v_fmac_f32_e32 v71, v42, v72
	v_fma_f32 v72, v43, v72, -v40
	ds_read2_b64 v[40:43], v15 offset0:84 offset1:174
	v_mul_f32_e32 v73, v47, v75
	v_mul_f32_e32 v44, v46, v75
	v_fmac_f32_e32 v73, v46, v74
	v_fma_f32 v74, v47, v74, -v44
	ds_read2_b64 v[44:47], v7 offset0:88 offset1:178
	s_waitcnt vmcnt(1) lgkmcnt(1)
	v_mul_f32_e32 v75, v41, v81
	v_fmac_f32_e32 v75, v40, v80
	v_mul_f32_e32 v40, v40, v81
	v_fma_f32 v80, v41, v80, -v40
	s_waitcnt lgkmcnt(0)
	v_mul_f32_e32 v81, v45, v83
	v_mul_f32_e32 v40, v44, v83
	v_fmac_f32_e32 v81, v44, v82
	v_fma_f32 v82, v45, v82, -v40
	s_waitcnt vmcnt(0)
	v_mul_f32_e32 v83, v43, v85
	v_mul_f32_e32 v40, v42, v85
	v_fmac_f32_e32 v83, v42, v84
	v_fma_f32 v84, v43, v84, -v40
	ds_read2_b64 v[40:43], v14 offset1:90
	v_mul_f32_e32 v85, v47, v87
	v_mul_f32_e32 v44, v46, v87
	v_fmac_f32_e32 v85, v46, v86
	v_fma_f32 v86, v47, v86, -v44
	v_add_f32_e32 v44, v88, v90
	s_waitcnt lgkmcnt(0)
	v_fma_f32 v60, -0.5, v44, v40
	v_add_f32_e32 v44, v89, v76
	v_fma_f32 v61, -0.5, v44, v41
	v_add_f32_e32 v44, v65, v66
	v_add_f32_e32 v87, v42, v65
	v_fma_f32 v42, -0.5, v44, v42
	v_add_f32_e32 v44, v64, v67
	v_add_f32_e32 v105, v43, v64
	v_fmac_f32_e32 v43, -0.5, v44
	v_sub_f32_e32 v106, v89, v76
	v_sub_f32_e32 v107, v88, v90
	;; [unrolled: 1-line block ×4, first 2 shown]
	v_mov_b32_e32 v62, v60
	v_fmac_f32_e32 v60, 0x3f5db3d7, v106
	v_mov_b32_e32 v63, v61
	v_fmac_f32_e32 v61, 0xbf5db3d7, v107
	;; [unrolled: 2-line block ×4, first 2 shown]
	ds_read2_b64 v[44:47], v22 offset0:52 offset1:142
	ds_read2_b64 v[48:51], v25 offset0:104 offset1:194
	;; [unrolled: 1-line block ×4, first 2 shown]
	v_add_f32_e32 v40, v40, v88
	v_add_f32_e32 v41, v41, v89
	s_waitcnt lgkmcnt(0)
	s_barrier
	ds_write2_b64 v21, v[60:61], v[42:43] offset0:88 offset1:178
	v_add_f32_e32 v40, v40, v90
	v_add_f32_e32 v41, v41, v76
	;; [unrolled: 1-line block ×4, first 2 shown]
	ds_write2_b64 v14, v[40:41], v[42:43] offset1:90
	v_add_f32_e32 v40, v44, v77
	v_add_f32_e32 v41, v45, v78
	v_fmac_f32_e32 v62, 0xbf5db3d7, v106
	v_fmac_f32_e32 v63, 0x3f5db3d7, v107
	v_add_f32_e32 v40, v40, v79
	v_add_f32_e32 v41, v41, v91
	ds_write2_b64 v22, v[40:41], v[62:63] offset0:52 offset1:172
	v_add_f32_e32 v41, v78, v91
	v_add_f32_e32 v40, v77, v79
	v_sub_f32_e32 v60, v78, v91
	v_fma_f32 v40, -0.5, v40, v44
	v_fma_f32 v41, -0.5, v41, v45
	v_sub_f32_e32 v44, v77, v79
	v_mov_b32_e32 v42, v40
	v_mov_b32_e32 v43, v41
	v_fmac_f32_e32 v40, 0x3f5db3d7, v60
	v_fmac_f32_e32 v41, 0xbf5db3d7, v44
	;; [unrolled: 1-line block ×6, first 2 shown]
	ds_write_b64 v14, v[40:41] offset:6240
	v_add_f32_e32 v40, v92, v94
	ds_write2_b64 v25, v[64:65], v[42:43] offset0:134 offset1:224
	v_add_f32_e32 v42, v46, v92
	v_fma_f32 v46, -0.5, v40, v46
	v_add_f32_e32 v40, v93, v95
	v_add_f32_e32 v43, v47, v93
	v_fmac_f32_e32 v47, -0.5, v40
	v_mov_b32_e32 v40, 0x1c20
	v_cndmask_b32_e32 v40, 0, v40, vcc
	v_add3_u32 v34, 0, v40, v34
	v_sub_f32_e32 v44, v93, v95
	v_mov_b32_e32 v40, v46
	v_sub_f32_e32 v45, v92, v94
	v_mov_b32_e32 v41, v47
	v_fmac_f32_e32 v46, 0x3f5db3d7, v44
	v_fmac_f32_e32 v47, 0xbf5db3d7, v45
	v_add_f32_e32 v42, v42, v94
	v_add_f32_e32 v43, v43, v95
	v_fmac_f32_e32 v40, 0xbf5db3d7, v44
	v_fmac_f32_e32 v41, 0x3f5db3d7, v45
	ds_write_b64 v34, v[46:47] offset:4800
	ds_write_b64 v34, v[42:43]
	ds_write_b64 v34, v[40:41] offset:2400
	v_add_f32_e32 v34, v96, v98
	v_fma_f32 v40, -0.5, v34, v48
	v_add_f32_e32 v34, v97, v99
	v_add_f32_e32 v42, v100, v102
	v_fma_f32 v41, -0.5, v34, v49
	v_add_f32_e32 v34, v50, v100
	v_fma_f32 v50, -0.5, v42, v50
	v_add_f32_e32 v42, v101, v103
	v_add_f32_e32 v47, v51, v101
	v_fmac_f32_e32 v51, -0.5, v42
	v_sub_f32_e32 v60, v97, v99
	v_sub_f32_e32 v61, v96, v98
	;; [unrolled: 1-line block ×4, first 2 shown]
	v_mov_b32_e32 v42, v40
	v_fmac_f32_e32 v40, 0x3f5db3d7, v60
	v_mov_b32_e32 v43, v41
	v_fmac_f32_e32 v41, 0xbf5db3d7, v61
	;; [unrolled: 2-line block ×4, first 2 shown]
	ds_write2_b64 v15, v[40:41], v[50:51] offset0:24 offset1:114
	v_add_f32_e32 v40, v48, v96
	v_add_f32_e32 v41, v49, v97
	v_add_f32_e32 v40, v40, v98
	v_add_f32_e32 v41, v41, v99
	v_add_f32_e32 v46, v34, v102
	v_add_f32_e32 v47, v47, v103
	v_add_u32_e32 v34, 0x1c00, v14
	v_fmac_f32_e32 v42, 0xbf5db3d7, v60
	v_fmac_f32_e32 v43, 0x3f5db3d7, v61
	;; [unrolled: 1-line block ×4, first 2 shown]
	ds_write2_b64 v34, v[40:41], v[46:47] offset0:64 offset1:154
	ds_write2_b64 v24, v[42:43], v[44:45] offset0:108 offset1:198
	v_add_f32_e32 v40, v52, v104
	v_add_f32_e32 v41, v53, v68
	v_add3_u32 v42, 0, v35, v36
	v_add_f32_e32 v36, v68, v70
	v_add_f32_e32 v35, v104, v69
	;; [unrolled: 1-line block ×4, first 2 shown]
	v_sub_f32_e32 v43, v68, v70
	v_fma_f32 v35, -0.5, v35, v52
	v_fma_f32 v36, -0.5, v36, v53
	v_sub_f32_e32 v44, v104, v69
	ds_write_b64 v42, v[40:41]
	v_mov_b32_e32 v40, v35
	v_mov_b32_e32 v41, v36
	v_fmac_f32_e32 v35, 0x3f5db3d7, v43
	v_fmac_f32_e32 v36, 0xbf5db3d7, v44
	ds_write_b64 v42, v[35:36] offset:4800
	v_add_f32_e32 v35, v71, v73
	v_fmac_f32_e32 v40, 0xbf5db3d7, v43
	v_fmac_f32_e32 v41, 0x3f5db3d7, v44
	v_add_f32_e32 v44, v54, v71
	v_fma_f32 v54, -0.5, v35, v54
	v_add_f32_e32 v35, v72, v74
	v_lshl_add_u32 v48, v37, 3, 0
	v_add_f32_e32 v37, v75, v81
	ds_write_b64 v42, v[40:41] offset:2400
	v_add_f32_e32 v45, v55, v72
	v_fmac_f32_e32 v55, -0.5, v35
	v_sub_f32_e32 v46, v72, v74
	v_sub_f32_e32 v47, v71, v73
	v_fma_f32 v40, -0.5, v37, v56
	v_add_f32_e32 v37, v80, v82
	v_mov_b32_e32 v35, v54
	v_fmac_f32_e32 v54, 0x3f5db3d7, v46
	v_mov_b32_e32 v36, v55
	v_fmac_f32_e32 v55, 0xbf5db3d7, v47
	v_fma_f32 v41, -0.5, v37, v57
	v_sub_f32_e32 v49, v80, v82
	v_sub_f32_e32 v50, v75, v81
	ds_write_b64 v48, v[54:55] offset:19200
	v_mov_b32_e32 v42, v40
	v_fmac_f32_e32 v40, 0x3f5db3d7, v49
	v_mov_b32_e32 v43, v41
	v_fmac_f32_e32 v41, 0xbf5db3d7, v50
	v_lshl_add_u32 v51, v38, 3, 0
	v_add_f32_e32 v53, v56, v75
	v_add_f32_e32 v54, v57, v80
	v_fmac_f32_e32 v35, 0xbf5db3d7, v46
	v_fmac_f32_e32 v36, 0x3f5db3d7, v47
	ds_write_b64 v51, v[40:41] offset:19200
	v_add_f32_e32 v41, v58, v83
	v_add_f32_e32 v52, v59, v84
	v_lshl_add_u32 v57, v39, 3, 0
	v_add_f32_e32 v39, v44, v73
	v_add_f32_e32 v40, v45, v74
	ds_write_b64 v48, v[35:36] offset:16800
	v_add_f32_e32 v35, v53, v81
	v_add_f32_e32 v36, v54, v82
	ds_write_b64 v48, v[39:40] offset:14400
	ds_write_b64 v51, v[35:36] offset:14400
	v_add_f32_e32 v35, v41, v85
	v_add_f32_e32 v36, v52, v86
	ds_write_b64 v57, v[35:36] offset:14400
	v_lshlrev_b32_e32 v35, 1, v29
	v_mov_b32_e32 v36, v1
	v_add_f32_e32 v37, v83, v85
	v_add_co_u32_e32 v12, vcc, s4, v12
	v_lshlrev_b64 v[35:36], 3, v[35:36]
	v_fma_f32 v58, -0.5, v37, v58
	v_add_f32_e32 v37, v84, v86
	v_addc_co_u32_e32 v13, vcc, 0, v13, vcc
	v_fmac_f32_e32 v59, -0.5, v37
	v_add_co_u32_e32 v29, vcc, s12, v35
	v_sub_f32_e32 v55, v84, v86
	v_mov_b32_e32 v37, v58
	v_sub_f32_e32 v56, v83, v85
	v_mov_b32_e32 v38, v59
	v_fmac_f32_e32 v42, 0xbf5db3d7, v49
	v_fmac_f32_e32 v43, 0x3f5db3d7, v50
	v_addc_co_u32_e32 v35, vcc, v28, v36, vcc
	v_fmac_f32_e32 v58, 0x3f5db3d7, v55
	v_fmac_f32_e32 v59, 0xbf5db3d7, v56
	ds_write_b64 v51, v[42:43] offset:16800
	v_fmac_f32_e32 v37, 0xbf5db3d7, v55
	v_fmac_f32_e32 v38, 0x3f5db3d7, v56
	v_add_co_u32_e32 v43, vcc, s4, v29
	ds_write_b64 v57, v[58:59] offset:19200
	ds_write_b64 v57, v[37:38] offset:16800
	v_addc_co_u32_e32 v44, vcc, 0, v35, vcc
	s_waitcnt lgkmcnt(0)
	s_barrier
	global_load_dwordx4 v[35:38], v[12:13], off offset:3080
	global_load_dwordx4 v[39:42], v[43:44], off offset:3080
	v_add_u32_e32 v12, 0x2d0, v0
	v_mov_b32_e32 v13, v1
	v_lshlrev_b64 v[12:13], 3, v[12:13]
	v_add_u32_e32 v0, 0x384, v0
	v_add_co_u32_e32 v12, vcc, s12, v12
	v_addc_co_u32_e32 v13, vcc, v28, v13, vcc
	v_add_co_u32_e32 v12, vcc, s4, v12
	v_lshlrev_b64 v[43:44], 3, v[0:1]
	v_addc_co_u32_e32 v13, vcc, 0, v13, vcc
	v_add_co_u32_e32 v0, vcc, s12, v43
	v_addc_co_u32_e32 v29, vcc, v28, v44, vcc
	v_add_co_u32_e32 v51, vcc, s4, v0
	v_lshlrev_b32_e32 v0, 1, v30
	v_addc_co_u32_e32 v52, vcc, 0, v29, vcc
	global_load_dwordx4 v[43:46], v[12:13], off offset:3080
	global_load_dwordx4 v[47:50], v[51:52], off offset:3080
	v_lshlrev_b64 v[12:13], 3, v[0:1]
	ds_read2_b64 v[63:66], v23 offset0:56 offset1:146
	v_add_co_u32_e32 v0, vcc, s12, v12
	v_addc_co_u32_e32 v13, vcc, v28, v13, vcc
	v_add_co_u32_e32 v12, vcc, s4, v0
	v_lshlrev_b32_e32 v0, 1, v31
	v_lshlrev_b64 v[29:30], 3, v[0:1]
	v_addc_co_u32_e32 v13, vcc, 0, v13, vcc
	v_add_co_u32_e32 v0, vcc, s12, v29
	v_addc_co_u32_e32 v29, vcc, v28, v30, vcc
	global_load_dwordx4 v[51:54], v[12:13], off offset:3080
	v_add_co_u32_e32 v12, vcc, s4, v0
	v_addc_co_u32_e32 v13, vcc, 0, v29, vcc
	v_lshlrev_b32_e32 v0, 1, v32
	global_load_dwordx4 v[55:58], v[12:13], off offset:3080
	v_lshlrev_b64 v[12:13], 3, v[0:1]
	v_lshlrev_b32_e32 v0, 1, v33
	v_add_co_u32_e32 v29, vcc, s12, v12
	v_addc_co_u32_e32 v30, vcc, v28, v13, vcc
	v_lshlrev_b64 v[12:13], 3, v[0:1]
	v_add_co_u32_e32 v29, vcc, s4, v29
	v_addc_co_u32_e32 v30, vcc, 0, v30, vcc
	v_add_co_u32_e32 v0, vcc, s12, v12
	v_addc_co_u32_e32 v13, vcc, v28, v13, vcc
	global_load_dwordx4 v[29:32], v[29:30], off offset:3080
	v_add_co_u32_e32 v12, vcc, s4, v0
	v_addc_co_u32_e32 v13, vcc, 0, v13, vcc
	global_load_dwordx4 v[59:62], v[12:13], off offset:3080
	;; [unrolled: 3-line block ×4, first 2 shown]
	ds_read2_b64 v[71:74], v26 offset0:60 offset1:150
	s_waitcnt vmcnt(9) lgkmcnt(1)
	v_mul_f32_e32 v0, v64, v36
	v_mul_f32_e32 v2, v63, v36
	v_fmac_f32_e32 v0, v63, v35
	v_fma_f32 v63, v64, v35, -v2
	s_waitcnt lgkmcnt(0)
	v_mul_f32_e32 v64, v72, v38
	v_mul_f32_e32 v2, v71, v38
	v_fmac_f32_e32 v64, v71, v37
	v_fma_f32 v71, v72, v37, -v2
	s_waitcnt vmcnt(8)
	v_mul_f32_e32 v72, v66, v40
	v_mul_f32_e32 v2, v65, v40
	v_fmac_f32_e32 v72, v65, v39
	v_fma_f32 v65, v66, v39, -v2
	v_mul_f32_e32 v66, v74, v42
	ds_read2_b64 v[35:38], v24 offset0:108 offset1:198
	v_mul_f32_e32 v2, v73, v42
	v_fmac_f32_e32 v66, v73, v41
	v_fma_f32 v73, v74, v41, -v2
	ds_read2_b64 v[39:42], v27 offset0:112 offset1:202
	s_waitcnt vmcnt(7) lgkmcnt(1)
	v_mul_f32_e32 v2, v35, v44
	v_fma_f32 v75, v36, v43, -v2
	s_waitcnt lgkmcnt(0)
	v_mul_f32_e32 v2, v39, v46
	v_mul_f32_e32 v74, v36, v44
	v_fma_f32 v77, v40, v45, -v2
	s_waitcnt vmcnt(6)
	v_mul_f32_e32 v78, v38, v48
	v_mul_f32_e32 v2, v37, v48
	v_fmac_f32_e32 v74, v35, v43
	v_mul_f32_e32 v76, v40, v46
	v_fmac_f32_e32 v78, v37, v47
	v_fma_f32 v48, v38, v47, -v2
	v_mul_f32_e32 v79, v42, v50
	ds_read2_b64 v[35:38], v19 offset0:160 offset1:250
	v_mul_f32_e32 v2, v41, v50
	v_fmac_f32_e32 v76, v39, v45
	v_fmac_f32_e32 v79, v41, v49
	v_fma_f32 v49, v42, v49, -v2
	ds_read2_b64 v[39:42], v17 offset0:36 offset1:126
	s_waitcnt vmcnt(5) lgkmcnt(1)
	v_mul_f32_e32 v50, v36, v52
	v_mul_f32_e32 v2, v35, v52
	v_fmac_f32_e32 v50, v35, v51
	v_fma_f32 v51, v36, v51, -v2
	s_waitcnt lgkmcnt(0)
	v_mul_f32_e32 v52, v40, v54
	v_mul_f32_e32 v2, v39, v54
	v_fmac_f32_e32 v52, v39, v53
	v_fma_f32 v53, v40, v53, -v2
	s_waitcnt vmcnt(4)
	v_mul_f32_e32 v54, v38, v56
	v_mul_f32_e32 v2, v37, v56
	v_fmac_f32_e32 v54, v37, v55
	v_fma_f32 v55, v38, v55, -v2
	v_mul_f32_e32 v56, v42, v58
	ds_read2_b64 v[35:38], v15 offset0:84 offset1:174
	v_mul_f32_e32 v2, v41, v58
	v_fmac_f32_e32 v56, v41, v57
	v_fma_f32 v57, v42, v57, -v2
	ds_read2_b64 v[39:42], v7 offset0:88 offset1:178
	s_waitcnt vmcnt(3) lgkmcnt(1)
	v_mul_f32_e32 v2, v35, v30
	v_fma_f32 v80, v36, v29, -v2
	s_waitcnt lgkmcnt(0)
	v_mul_f32_e32 v2, v39, v32
	v_fma_f32 v82, v40, v31, -v2
	v_mul_f32_e32 v58, v36, v30
	s_waitcnt vmcnt(2)
	v_mul_f32_e32 v83, v38, v60
	v_mul_f32_e32 v2, v37, v60
	v_fmac_f32_e32 v83, v37, v59
	v_fma_f32 v59, v38, v59, -v2
	ds_read_b64 v[2:3], v14 offset:7200
	v_mul_f32_e32 v81, v40, v32
	v_mul_f32_e32 v60, v42, v62
	;; [unrolled: 1-line block ×3, first 2 shown]
	v_fmac_f32_e32 v58, v35, v29
	v_fmac_f32_e32 v81, v39, v31
	;; [unrolled: 1-line block ×3, first 2 shown]
	v_fma_f32 v61, v42, v61, -v28
	ds_read2_b64 v[28:31], v20 offset0:8 offset1:98
	s_waitcnt vmcnt(1) lgkmcnt(1)
	v_mul_f32_e32 v62, v68, v3
	v_fmac_f32_e32 v62, v67, v2
	v_mul_f32_e32 v2, v68, v2
	v_fma_f32 v67, v67, v3, -v2
	s_waitcnt lgkmcnt(0)
	v_mul_f32_e32 v68, v70, v29
	v_mul_f32_e32 v2, v70, v28
	v_fmac_f32_e32 v68, v69, v28
	v_fma_f32 v69, v69, v29, -v2
	ds_read2_b32 v[2:3], v34 offset0:188 offset1:189
	s_waitcnt vmcnt(0)
	v_mul_f32_e32 v70, v31, v13
	v_mul_f32_e32 v13, v30, v13
	v_fmac_f32_e32 v70, v30, v12
	v_fma_f32 v84, v31, v12, -v13
	ds_read2_b64 v[28:31], v14 offset1:90
	s_waitcnt lgkmcnt(1)
	v_mul_f32_e32 v12, v3, v11
	v_fmac_f32_e32 v12, v10, v2
	v_mul_f32_e32 v2, v11, v2
	v_fma_f32 v10, v3, v10, -v2
	v_add_f32_e32 v11, v12, v70
	v_add_f32_e32 v2, v62, v68
	;; [unrolled: 1-line block ×3, first 2 shown]
	s_waitcnt lgkmcnt(0)
	v_add_f32_e32 v85, v30, v12
	v_fma_f32 v30, -0.5, v11, v30
	v_add_f32_e32 v11, v10, v84
	v_fma_f32 v2, -0.5, v2, v28
	v_fma_f32 v3, -0.5, v3, v29
	v_add_f32_e32 v86, v31, v10
	v_fmac_f32_e32 v31, -0.5, v11
	v_sub_f32_e32 v87, v67, v69
	v_sub_f32_e32 v88, v62, v68
	;; [unrolled: 1-line block ×4, first 2 shown]
	v_mov_b32_e32 v44, v2
	v_fmac_f32_e32 v2, 0x3f5db3d7, v87
	v_mov_b32_e32 v45, v3
	v_fmac_f32_e32 v3, 0xbf5db3d7, v88
	;; [unrolled: 2-line block ×4, first 2 shown]
	ds_read2_b64 v[10:13], v22 offset0:52 offset1:142
	ds_read2_b64 v[32:35], v25 offset0:104 offset1:194
	;; [unrolled: 1-line block ×4, first 2 shown]
	s_waitcnt lgkmcnt(0)
	s_barrier
	ds_write2_b64 v20, v[2:3], v[30:31] offset0:8 offset1:98
	v_add_f32_e32 v2, v28, v62
	v_add_f32_e32 v3, v29, v67
	;; [unrolled: 1-line block ×6, first 2 shown]
	v_fmac_f32_e32 v44, 0xbf5db3d7, v87
	v_fmac_f32_e32 v45, 0x3f5db3d7, v88
	;; [unrolled: 1-line block ×4, first 2 shown]
	ds_write2_b64 v14, v[2:3], v[28:29] offset1:90
	ds_write2_b64 v18, v[44:45], v[46:47] offset0:132 offset1:222
	v_add_f32_e32 v2, v0, v64
	v_add_f32_e32 v3, v63, v71
	;; [unrolled: 1-line block ×4, first 2 shown]
	v_fma_f32 v2, -0.5, v2, v10
	v_fma_f32 v3, -0.5, v3, v11
	v_add_f32_e32 v14, v12, v72
	v_fma_f32 v12, -0.5, v18, v12
	v_add_f32_e32 v18, v13, v65
	v_fmac_f32_e32 v13, -0.5, v20
	v_sub_f32_e32 v20, v63, v71
	v_sub_f32_e32 v44, v0, v64
	;; [unrolled: 1-line block ×4, first 2 shown]
	v_mov_b32_e32 v28, v2
	v_fmac_f32_e32 v2, 0x3f5db3d7, v20
	v_mov_b32_e32 v29, v3
	v_fmac_f32_e32 v3, 0xbf5db3d7, v44
	;; [unrolled: 2-line block ×4, first 2 shown]
	ds_write2_b64 v26, v[2:3], v[12:13] offset0:60 offset1:150
	v_add_f32_e32 v0, v10, v0
	v_add_f32_e32 v3, v11, v63
	;; [unrolled: 1-line block ×7, first 2 shown]
	ds_write2_b64 v22, v[2:3], v[10:11] offset0:52 offset1:142
	v_fma_f32 v2, -0.5, v0, v32
	v_add_f32_e32 v0, v75, v77
	v_add_f32_e32 v10, v78, v79
	v_fmac_f32_e32 v28, 0xbf5db3d7, v20
	v_fmac_f32_e32 v29, 0x3f5db3d7, v44
	;; [unrolled: 1-line block ×4, first 2 shown]
	v_fma_f32 v3, -0.5, v0, v33
	v_add_f32_e32 v0, v34, v78
	v_fma_f32 v34, -0.5, v10, v34
	v_add_f32_e32 v10, v48, v49
	ds_write2_b64 v23, v[28:29], v[30:31] offset0:56 offset1:146
	v_add_f32_e32 v14, v35, v48
	v_fmac_f32_e32 v35, -0.5, v10
	v_sub_f32_e32 v18, v75, v77
	v_sub_f32_e32 v20, v74, v76
	;; [unrolled: 1-line block ×4, first 2 shown]
	v_mov_b32_e32 v10, v2
	v_fmac_f32_e32 v2, 0x3f5db3d7, v18
	v_mov_b32_e32 v11, v3
	v_fmac_f32_e32 v3, 0xbf5db3d7, v20
	;; [unrolled: 2-line block ×4, first 2 shown]
	ds_write2_b64 v27, v[2:3], v[34:35] offset0:112 offset1:202
	v_add_f32_e32 v2, v32, v74
	v_add_f32_e32 v3, v33, v75
	;; [unrolled: 1-line block ×7, first 2 shown]
	ds_write2_b64 v25, v[2:3], v[22:23] offset0:104 offset1:194
	v_add_f32_e32 v2, v0, v52
	v_add_f32_e32 v0, v37, v51
	v_fmac_f32_e32 v10, 0xbf5db3d7, v18
	v_fmac_f32_e32 v11, 0x3f5db3d7, v20
	;; [unrolled: 1-line block ×4, first 2 shown]
	v_add_f32_e32 v3, v0, v53
	v_add_f32_e32 v0, v38, v54
	ds_write2_b64 v24, v[10:11], v[12:13] offset0:108 offset1:198
	v_add_f32_e32 v10, v0, v56
	v_add_f32_e32 v0, v39, v55
	;; [unrolled: 1-line block ×3, first 2 shown]
	ds_write2_b64 v21, v[2:3], v[10:11] offset0:28 offset1:118
	v_add_f32_e32 v10, v54, v56
	v_add_f32_e32 v3, v51, v53
	;; [unrolled: 1-line block ×3, first 2 shown]
	v_fma_f32 v38, -0.5, v10, v38
	v_add_f32_e32 v10, v55, v57
	v_fma_f32 v2, -0.5, v2, v36
	v_fma_f32 v3, -0.5, v3, v37
	v_fmac_f32_e32 v39, -0.5, v10
	v_sub_f32_e32 v0, v51, v53
	v_sub_f32_e32 v14, v50, v52
	;; [unrolled: 1-line block ×4, first 2 shown]
	v_mov_b32_e32 v10, v2
	v_mov_b32_e32 v11, v3
	;; [unrolled: 1-line block ×4, first 2 shown]
	v_fmac_f32_e32 v10, 0xbf5db3d7, v0
	v_fmac_f32_e32 v11, 0x3f5db3d7, v14
	;; [unrolled: 1-line block ×5, first 2 shown]
	v_add_f32_e32 v0, v58, v81
	ds_write2_b64 v19, v[10:11], v[12:13] offset0:160 offset1:250
	v_fma_f32 v10, -0.5, v0, v40
	v_sub_f32_e32 v0, v80, v82
	v_mov_b32_e32 v12, v10
	v_fmac_f32_e32 v12, 0xbf5db3d7, v0
	v_fmac_f32_e32 v10, 0x3f5db3d7, v0
	v_add_f32_e32 v0, v40, v58
	v_fmac_f32_e32 v38, 0x3f5db3d7, v18
	v_add_f32_e32 v18, v0, v81
	v_add_f32_e32 v0, v41, v80
	;; [unrolled: 1-line block ×4, first 2 shown]
	v_fma_f32 v11, -0.5, v0, v41
	v_sub_f32_e32 v0, v58, v81
	v_mov_b32_e32 v13, v11
	v_fmac_f32_e32 v13, 0x3f5db3d7, v0
	v_fmac_f32_e32 v11, 0xbf5db3d7, v0
	v_add_f32_e32 v0, v42, v83
	v_add_f32_e32 v22, v0, v60
	;; [unrolled: 1-line block ×3, first 2 shown]
	v_fmac_f32_e32 v3, 0xbf5db3d7, v14
	v_add_f32_e32 v14, v83, v60
	v_add_f32_e32 v23, v0, v61
	;; [unrolled: 1-line block ×3, first 2 shown]
	v_fma_f32 v42, -0.5, v14, v42
	v_fmac_f32_e32 v43, -0.5, v0
	v_fmac_f32_e32 v39, 0xbf5db3d7, v20
	v_sub_f32_e32 v14, v59, v61
	v_mov_b32_e32 v20, v42
	v_sub_f32_e32 v0, v83, v60
	v_mov_b32_e32 v21, v43
	v_fmac_f32_e32 v20, 0xbf5db3d7, v14
	v_fmac_f32_e32 v42, 0x3f5db3d7, v14
	;; [unrolled: 1-line block ×4, first 2 shown]
	ds_write2_b64 v17, v[2:3], v[38:39] offset0:36 offset1:126
	ds_write2_b64 v16, v[18:19], v[22:23] offset0:80 offset1:170
	;; [unrolled: 1-line block ×4, first 2 shown]
	s_waitcnt lgkmcnt(0)
	s_barrier
	s_and_saveexec_b64 s[4:5], s[0:1]
	s_cbranch_execz .LBB0_21
; %bb.20:
	v_mul_lo_u32 v0, s3, v8
	v_mul_lo_u32 v7, s2, v9
	v_mad_u64_u32 v[2:3], s[0:1], s2, v8, 0
	v_lshl_add_u32 v12, v6, 3, 0
	ds_read2_b64 v[8:11], v12 offset1:90
	v_add3_u32 v3, v3, v7, v0
	v_lshlrev_b64 v[2:3], 3, v[2:3]
	v_mov_b32_e32 v0, s11
	v_add_co_u32_e32 v13, vcc, s10, v2
	v_addc_co_u32_e32 v0, vcc, v0, v3, vcc
	v_lshlrev_b64 v[2:3], 3, v[4:5]
	v_mov_b32_e32 v7, v1
	v_add_co_u32_e32 v13, vcc, v13, v2
	v_addc_co_u32_e32 v14, vcc, v0, v3, vcc
	v_lshlrev_b64 v[2:3], 3, v[6:7]
	v_add_u32_e32 v0, 0x5a, v6
	v_add_co_u32_e32 v2, vcc, v13, v2
	v_addc_co_u32_e32 v3, vcc, v14, v3, vcc
	s_waitcnt lgkmcnt(0)
	global_store_dwordx2 v[2:3], v[8:9], off
	v_lshlrev_b64 v[2:3], 3, v[0:1]
	v_add_u32_e32 v0, 0xb4, v6
	v_add_co_u32_e32 v2, vcc, v13, v2
	v_addc_co_u32_e32 v3, vcc, v14, v3, vcc
	global_store_dwordx2 v[2:3], v[10:11], off
	v_add_u32_e32 v2, 0x400, v12
	ds_read2_b64 v[2:5], v2 offset0:52 offset1:142
	v_lshlrev_b64 v[7:8], 3, v[0:1]
	v_add_u32_e32 v0, 0x10e, v6
	v_add_co_u32_e32 v7, vcc, v13, v7
	v_addc_co_u32_e32 v8, vcc, v14, v8, vcc
	s_waitcnt lgkmcnt(0)
	global_store_dwordx2 v[7:8], v[2:3], off
	v_lshlrev_b64 v[2:3], 3, v[0:1]
	v_add_u32_e32 v0, 0x168, v6
	v_add_co_u32_e32 v2, vcc, v13, v2
	v_addc_co_u32_e32 v3, vcc, v14, v3, vcc
	global_store_dwordx2 v[2:3], v[4:5], off
	v_add_u32_e32 v2, 0x800, v12
	ds_read2_b64 v[2:5], v2 offset0:104 offset1:194
	;; [unrolled: 13-line block ×13, first 2 shown]
	v_lshlrev_b64 v[7:8], 3, v[0:1]
	v_add_u32_e32 v0, 0x97e, v6
	v_add_co_u32_e32 v7, vcc, v13, v7
	v_addc_co_u32_e32 v8, vcc, v14, v8, vcc
	s_waitcnt lgkmcnt(0)
	global_store_dwordx2 v[7:8], v[2:3], off
	v_lshlrev_b64 v[2:3], 3, v[0:1]
	v_add_u32_e32 v0, 0x9d8, v6
	v_add_co_u32_e32 v2, vcc, v13, v2
	v_addc_co_u32_e32 v3, vcc, v14, v3, vcc
	global_store_dwordx2 v[2:3], v[4:5], off
	v_add_u32_e32 v2, 0x4c00, v12
	v_lshlrev_b64 v[7:8], 3, v[0:1]
	ds_read2_b64 v[2:5], v2 offset0:88 offset1:178
	v_add_u32_e32 v0, 0xa32, v6
	v_add_co_u32_e32 v7, vcc, v13, v7
	v_lshlrev_b64 v[0:1], 3, v[0:1]
	v_addc_co_u32_e32 v8, vcc, v14, v8, vcc
	v_add_co_u32_e32 v0, vcc, v13, v0
	v_addc_co_u32_e32 v1, vcc, v14, v1, vcc
	s_waitcnt lgkmcnt(0)
	global_store_dwordx2 v[7:8], v[2:3], off
	global_store_dwordx2 v[0:1], v[4:5], off
.LBB0_21:
	s_endpgm
	.section	.rodata,"a",@progbits
	.p2align	6, 0x0
	.amdhsa_kernel fft_rtc_back_len2700_factors_3_10_10_3_3_wgs_90_tpt_90_halfLds_sp_op_CI_CI_unitstride_sbrr_C2R_dirReg
		.amdhsa_group_segment_fixed_size 0
		.amdhsa_private_segment_fixed_size 0
		.amdhsa_kernarg_size 104
		.amdhsa_user_sgpr_count 6
		.amdhsa_user_sgpr_private_segment_buffer 1
		.amdhsa_user_sgpr_dispatch_ptr 0
		.amdhsa_user_sgpr_queue_ptr 0
		.amdhsa_user_sgpr_kernarg_segment_ptr 1
		.amdhsa_user_sgpr_dispatch_id 0
		.amdhsa_user_sgpr_flat_scratch_init 0
		.amdhsa_user_sgpr_private_segment_size 0
		.amdhsa_uses_dynamic_stack 0
		.amdhsa_system_sgpr_private_segment_wavefront_offset 0
		.amdhsa_system_sgpr_workgroup_id_x 1
		.amdhsa_system_sgpr_workgroup_id_y 0
		.amdhsa_system_sgpr_workgroup_id_z 0
		.amdhsa_system_sgpr_workgroup_info 0
		.amdhsa_system_vgpr_workitem_id 0
		.amdhsa_next_free_vgpr 117
		.amdhsa_next_free_sgpr 28
		.amdhsa_reserve_vcc 1
		.amdhsa_reserve_flat_scratch 0
		.amdhsa_float_round_mode_32 0
		.amdhsa_float_round_mode_16_64 0
		.amdhsa_float_denorm_mode_32 3
		.amdhsa_float_denorm_mode_16_64 3
		.amdhsa_dx10_clamp 1
		.amdhsa_ieee_mode 1
		.amdhsa_fp16_overflow 0
		.amdhsa_exception_fp_ieee_invalid_op 0
		.amdhsa_exception_fp_denorm_src 0
		.amdhsa_exception_fp_ieee_div_zero 0
		.amdhsa_exception_fp_ieee_overflow 0
		.amdhsa_exception_fp_ieee_underflow 0
		.amdhsa_exception_fp_ieee_inexact 0
		.amdhsa_exception_int_div_zero 0
	.end_amdhsa_kernel
	.text
.Lfunc_end0:
	.size	fft_rtc_back_len2700_factors_3_10_10_3_3_wgs_90_tpt_90_halfLds_sp_op_CI_CI_unitstride_sbrr_C2R_dirReg, .Lfunc_end0-fft_rtc_back_len2700_factors_3_10_10_3_3_wgs_90_tpt_90_halfLds_sp_op_CI_CI_unitstride_sbrr_C2R_dirReg
                                        ; -- End function
	.section	.AMDGPU.csdata,"",@progbits
; Kernel info:
; codeLenInByte = 18544
; NumSgprs: 32
; NumVgprs: 117
; ScratchSize: 0
; MemoryBound: 0
; FloatMode: 240
; IeeeMode: 1
; LDSByteSize: 0 bytes/workgroup (compile time only)
; SGPRBlocks: 3
; VGPRBlocks: 29
; NumSGPRsForWavesPerEU: 32
; NumVGPRsForWavesPerEU: 117
; Occupancy: 2
; WaveLimiterHint : 1
; COMPUTE_PGM_RSRC2:SCRATCH_EN: 0
; COMPUTE_PGM_RSRC2:USER_SGPR: 6
; COMPUTE_PGM_RSRC2:TRAP_HANDLER: 0
; COMPUTE_PGM_RSRC2:TGID_X_EN: 1
; COMPUTE_PGM_RSRC2:TGID_Y_EN: 0
; COMPUTE_PGM_RSRC2:TGID_Z_EN: 0
; COMPUTE_PGM_RSRC2:TIDIG_COMP_CNT: 0
	.type	__hip_cuid_2d7927af50246358,@object ; @__hip_cuid_2d7927af50246358
	.section	.bss,"aw",@nobits
	.globl	__hip_cuid_2d7927af50246358
__hip_cuid_2d7927af50246358:
	.byte	0                               ; 0x0
	.size	__hip_cuid_2d7927af50246358, 1

	.ident	"AMD clang version 19.0.0git (https://github.com/RadeonOpenCompute/llvm-project roc-6.4.0 25133 c7fe45cf4b819c5991fe208aaa96edf142730f1d)"
	.section	".note.GNU-stack","",@progbits
	.addrsig
	.addrsig_sym __hip_cuid_2d7927af50246358
	.amdgpu_metadata
---
amdhsa.kernels:
  - .args:
      - .actual_access:  read_only
        .address_space:  global
        .offset:         0
        .size:           8
        .value_kind:     global_buffer
      - .offset:         8
        .size:           8
        .value_kind:     by_value
      - .actual_access:  read_only
        .address_space:  global
        .offset:         16
        .size:           8
        .value_kind:     global_buffer
      - .actual_access:  read_only
        .address_space:  global
        .offset:         24
        .size:           8
        .value_kind:     global_buffer
      - .actual_access:  read_only
        .address_space:  global
        .offset:         32
        .size:           8
        .value_kind:     global_buffer
      - .offset:         40
        .size:           8
        .value_kind:     by_value
      - .actual_access:  read_only
        .address_space:  global
        .offset:         48
        .size:           8
        .value_kind:     global_buffer
      - .actual_access:  read_only
        .address_space:  global
        .offset:         56
        .size:           8
        .value_kind:     global_buffer
      - .offset:         64
        .size:           4
        .value_kind:     by_value
      - .actual_access:  read_only
        .address_space:  global
        .offset:         72
        .size:           8
        .value_kind:     global_buffer
      - .actual_access:  read_only
        .address_space:  global
        .offset:         80
        .size:           8
        .value_kind:     global_buffer
      - .actual_access:  read_only
        .address_space:  global
        .offset:         88
        .size:           8
        .value_kind:     global_buffer
      - .actual_access:  write_only
        .address_space:  global
        .offset:         96
        .size:           8
        .value_kind:     global_buffer
    .group_segment_fixed_size: 0
    .kernarg_segment_align: 8
    .kernarg_segment_size: 104
    .language:       OpenCL C
    .language_version:
      - 2
      - 0
    .max_flat_workgroup_size: 90
    .name:           fft_rtc_back_len2700_factors_3_10_10_3_3_wgs_90_tpt_90_halfLds_sp_op_CI_CI_unitstride_sbrr_C2R_dirReg
    .private_segment_fixed_size: 0
    .sgpr_count:     32
    .sgpr_spill_count: 0
    .symbol:         fft_rtc_back_len2700_factors_3_10_10_3_3_wgs_90_tpt_90_halfLds_sp_op_CI_CI_unitstride_sbrr_C2R_dirReg.kd
    .uniform_work_group_size: 1
    .uses_dynamic_stack: false
    .vgpr_count:     117
    .vgpr_spill_count: 0
    .wavefront_size: 64
amdhsa.target:   amdgcn-amd-amdhsa--gfx906
amdhsa.version:
  - 1
  - 2
...

	.end_amdgpu_metadata
